;; amdgpu-corpus repo=ROCm/rocFFT kind=compiled arch=gfx906 opt=O3
	.text
	.amdgcn_target "amdgcn-amd-amdhsa--gfx906"
	.amdhsa_code_object_version 6
	.protected	fft_rtc_back_len182_factors_13_2_7_wgs_52_tpt_13_dp_op_CI_CI_sbrr_dirReg ; -- Begin function fft_rtc_back_len182_factors_13_2_7_wgs_52_tpt_13_dp_op_CI_CI_sbrr_dirReg
	.globl	fft_rtc_back_len182_factors_13_2_7_wgs_52_tpt_13_dp_op_CI_CI_sbrr_dirReg
	.p2align	8
	.type	fft_rtc_back_len182_factors_13_2_7_wgs_52_tpt_13_dp_op_CI_CI_sbrr_dirReg,@function
fft_rtc_back_len182_factors_13_2_7_wgs_52_tpt_13_dp_op_CI_CI_sbrr_dirReg: ; @fft_rtc_back_len182_factors_13_2_7_wgs_52_tpt_13_dp_op_CI_CI_sbrr_dirReg
; %bb.0:
	s_load_dwordx4 s[16:19], s[4:5], 0x18
	s_load_dwordx4 s[12:15], s[4:5], 0x0
	;; [unrolled: 1-line block ×3, first 2 shown]
	v_mul_u32_u24_e32 v1, 0x13b2, v0
	v_lshrrev_b32_e32 v107, 16, v1
	s_waitcnt lgkmcnt(0)
	s_load_dwordx2 s[20:21], s[16:17], 0x0
	s_load_dwordx2 s[2:3], s[18:19], 0x0
	v_cmp_lt_u64_e64 s[0:1], s[14:15], 2
	v_mov_b32_e32 v1, 0
	v_mov_b32_e32 v4, 0
	v_lshl_add_u32 v6, s6, 2, v107
	v_mov_b32_e32 v7, v1
	s_and_b64 vcc, exec, s[0:1]
	v_mov_b32_e32 v5, 0
	s_cbranch_vccnz .LBB0_8
; %bb.1:
	s_load_dwordx2 s[0:1], s[4:5], 0x10
	s_add_u32 s6, s18, 8
	s_addc_u32 s7, s19, 0
	s_add_u32 s22, s16, 8
	v_mov_b32_e32 v4, 0
	s_addc_u32 s23, s17, 0
	v_mov_b32_e32 v5, 0
	s_waitcnt lgkmcnt(0)
	s_add_u32 s24, s0, 8
	v_mov_b32_e32 v105, v5
	s_addc_u32 s25, s1, 0
	s_mov_b64 s[26:27], 1
	v_mov_b32_e32 v104, v4
.LBB0_2:                                ; =>This Inner Loop Header: Depth=1
	s_load_dwordx2 s[28:29], s[24:25], 0x0
                                        ; implicit-def: $vgpr108_vgpr109
	s_waitcnt lgkmcnt(0)
	v_or_b32_e32 v2, s29, v7
	v_cmp_ne_u64_e32 vcc, 0, v[1:2]
	s_and_saveexec_b64 s[0:1], vcc
	s_xor_b64 s[30:31], exec, s[0:1]
	s_cbranch_execz .LBB0_4
; %bb.3:                                ;   in Loop: Header=BB0_2 Depth=1
	v_cvt_f32_u32_e32 v2, s28
	v_cvt_f32_u32_e32 v3, s29
	s_sub_u32 s0, 0, s28
	s_subb_u32 s1, 0, s29
	v_mac_f32_e32 v2, 0x4f800000, v3
	v_rcp_f32_e32 v2, v2
	v_mul_f32_e32 v2, 0x5f7ffffc, v2
	v_mul_f32_e32 v3, 0x2f800000, v2
	v_trunc_f32_e32 v3, v3
	v_mac_f32_e32 v2, 0xcf800000, v3
	v_cvt_u32_f32_e32 v3, v3
	v_cvt_u32_f32_e32 v2, v2
	v_mul_lo_u32 v8, s0, v3
	v_mul_hi_u32 v9, s0, v2
	v_mul_lo_u32 v11, s1, v2
	v_mul_lo_u32 v10, s0, v2
	v_add_u32_e32 v8, v9, v8
	v_add_u32_e32 v8, v8, v11
	v_mul_hi_u32 v9, v2, v10
	v_mul_lo_u32 v11, v2, v8
	v_mul_hi_u32 v13, v2, v8
	v_mul_hi_u32 v12, v3, v10
	v_mul_lo_u32 v10, v3, v10
	v_mul_hi_u32 v14, v3, v8
	v_add_co_u32_e32 v9, vcc, v9, v11
	v_addc_co_u32_e32 v11, vcc, 0, v13, vcc
	v_mul_lo_u32 v8, v3, v8
	v_add_co_u32_e32 v9, vcc, v9, v10
	v_addc_co_u32_e32 v9, vcc, v11, v12, vcc
	v_addc_co_u32_e32 v10, vcc, 0, v14, vcc
	v_add_co_u32_e32 v8, vcc, v9, v8
	v_addc_co_u32_e32 v9, vcc, 0, v10, vcc
	v_add_co_u32_e32 v2, vcc, v2, v8
	v_addc_co_u32_e32 v3, vcc, v3, v9, vcc
	v_mul_lo_u32 v8, s0, v3
	v_mul_hi_u32 v9, s0, v2
	v_mul_lo_u32 v10, s1, v2
	v_mul_lo_u32 v11, s0, v2
	v_add_u32_e32 v8, v9, v8
	v_add_u32_e32 v8, v8, v10
	v_mul_lo_u32 v12, v2, v8
	v_mul_hi_u32 v13, v2, v11
	v_mul_hi_u32 v14, v2, v8
	;; [unrolled: 1-line block ×3, first 2 shown]
	v_mul_lo_u32 v11, v3, v11
	v_mul_hi_u32 v9, v3, v8
	v_add_co_u32_e32 v12, vcc, v13, v12
	v_addc_co_u32_e32 v13, vcc, 0, v14, vcc
	v_mul_lo_u32 v8, v3, v8
	v_add_co_u32_e32 v11, vcc, v12, v11
	v_addc_co_u32_e32 v10, vcc, v13, v10, vcc
	v_addc_co_u32_e32 v9, vcc, 0, v9, vcc
	v_add_co_u32_e32 v8, vcc, v10, v8
	v_addc_co_u32_e32 v9, vcc, 0, v9, vcc
	v_add_co_u32_e32 v8, vcc, v2, v8
	v_addc_co_u32_e32 v9, vcc, v3, v9, vcc
	v_mad_u64_u32 v[2:3], s[0:1], v6, v9, 0
	v_mul_hi_u32 v10, v6, v8
	v_add_co_u32_e32 v10, vcc, v10, v2
	v_addc_co_u32_e32 v11, vcc, 0, v3, vcc
	v_mad_u64_u32 v[2:3], s[0:1], v7, v8, 0
	v_mad_u64_u32 v[8:9], s[0:1], v7, v9, 0
	v_add_co_u32_e32 v2, vcc, v10, v2
	v_addc_co_u32_e32 v2, vcc, v11, v3, vcc
	v_addc_co_u32_e32 v3, vcc, 0, v9, vcc
	v_add_co_u32_e32 v8, vcc, v2, v8
	v_addc_co_u32_e32 v9, vcc, 0, v3, vcc
	v_mul_lo_u32 v10, s29, v8
	v_mul_lo_u32 v11, s28, v9
	v_mad_u64_u32 v[2:3], s[0:1], s28, v8, 0
	v_add3_u32 v3, v3, v11, v10
	v_sub_u32_e32 v10, v7, v3
	v_mov_b32_e32 v11, s29
	v_sub_co_u32_e32 v2, vcc, v6, v2
	v_subb_co_u32_e64 v10, s[0:1], v10, v11, vcc
	v_subrev_co_u32_e64 v11, s[0:1], s28, v2
	v_subbrev_co_u32_e64 v10, s[0:1], 0, v10, s[0:1]
	v_cmp_le_u32_e64 s[0:1], s29, v10
	v_cndmask_b32_e64 v12, 0, -1, s[0:1]
	v_cmp_le_u32_e64 s[0:1], s28, v11
	v_cndmask_b32_e64 v11, 0, -1, s[0:1]
	v_cmp_eq_u32_e64 s[0:1], s29, v10
	v_cndmask_b32_e64 v10, v12, v11, s[0:1]
	v_add_co_u32_e64 v11, s[0:1], 2, v8
	v_addc_co_u32_e64 v12, s[0:1], 0, v9, s[0:1]
	v_add_co_u32_e64 v13, s[0:1], 1, v8
	v_addc_co_u32_e64 v14, s[0:1], 0, v9, s[0:1]
	v_subb_co_u32_e32 v3, vcc, v7, v3, vcc
	v_cmp_ne_u32_e64 s[0:1], 0, v10
	v_cmp_le_u32_e32 vcc, s29, v3
	v_cndmask_b32_e64 v10, v14, v12, s[0:1]
	v_cndmask_b32_e64 v12, 0, -1, vcc
	v_cmp_le_u32_e32 vcc, s28, v2
	v_cndmask_b32_e64 v2, 0, -1, vcc
	v_cmp_eq_u32_e32 vcc, s29, v3
	v_cndmask_b32_e32 v2, v12, v2, vcc
	v_cmp_ne_u32_e32 vcc, 0, v2
	v_cndmask_b32_e64 v2, v13, v11, s[0:1]
	v_cndmask_b32_e32 v109, v9, v10, vcc
	v_cndmask_b32_e32 v108, v8, v2, vcc
.LBB0_4:                                ;   in Loop: Header=BB0_2 Depth=1
	s_andn2_saveexec_b64 s[0:1], s[30:31]
	s_cbranch_execz .LBB0_6
; %bb.5:                                ;   in Loop: Header=BB0_2 Depth=1
	v_cvt_f32_u32_e32 v2, s28
	s_sub_i32 s30, 0, s28
	v_mov_b32_e32 v109, v1
	v_rcp_iflag_f32_e32 v2, v2
	v_mul_f32_e32 v2, 0x4f7ffffe, v2
	v_cvt_u32_f32_e32 v2, v2
	v_mul_lo_u32 v3, s30, v2
	v_mul_hi_u32 v3, v2, v3
	v_add_u32_e32 v2, v2, v3
	v_mul_hi_u32 v2, v6, v2
	v_mul_lo_u32 v3, v2, s28
	v_add_u32_e32 v8, 1, v2
	v_sub_u32_e32 v3, v6, v3
	v_subrev_u32_e32 v9, s28, v3
	v_cmp_le_u32_e32 vcc, s28, v3
	v_cndmask_b32_e32 v3, v3, v9, vcc
	v_cndmask_b32_e32 v2, v2, v8, vcc
	v_add_u32_e32 v8, 1, v2
	v_cmp_le_u32_e32 vcc, s28, v3
	v_cndmask_b32_e32 v108, v2, v8, vcc
.LBB0_6:                                ;   in Loop: Header=BB0_2 Depth=1
	s_or_b64 exec, exec, s[0:1]
	v_mul_lo_u32 v8, v109, s28
	v_mul_lo_u32 v9, v108, s29
	v_mad_u64_u32 v[2:3], s[0:1], v108, s28, 0
	s_load_dwordx2 s[0:1], s[22:23], 0x0
	s_load_dwordx2 s[28:29], s[6:7], 0x0
	v_add3_u32 v3, v3, v9, v8
	v_sub_co_u32_e32 v2, vcc, v6, v2
	v_subb_co_u32_e32 v3, vcc, v7, v3, vcc
	s_waitcnt lgkmcnt(0)
	v_mul_lo_u32 v6, s0, v3
	v_mul_lo_u32 v7, s1, v2
	v_mad_u64_u32 v[4:5], s[0:1], s0, v2, v[4:5]
	v_mul_lo_u32 v3, s28, v3
	v_mul_lo_u32 v8, s29, v2
	v_mad_u64_u32 v[104:105], s[0:1], s28, v2, v[104:105]
	s_add_u32 s26, s26, 1
	s_addc_u32 s27, s27, 0
	s_add_u32 s6, s6, 8
	v_add3_u32 v105, v8, v105, v3
	s_addc_u32 s7, s7, 0
	v_mov_b32_e32 v2, s14
	s_add_u32 s22, s22, 8
	v_mov_b32_e32 v3, s15
	s_addc_u32 s23, s23, 0
	v_cmp_ge_u64_e32 vcc, s[26:27], v[2:3]
	s_add_u32 s24, s24, 8
	v_add3_u32 v5, v7, v5, v6
	s_addc_u32 s25, s25, 0
	s_cbranch_vccnz .LBB0_9
; %bb.7:                                ;   in Loop: Header=BB0_2 Depth=1
	v_mov_b32_e32 v6, v108
	v_mov_b32_e32 v7, v109
	s_branch .LBB0_2
.LBB0_8:
	v_mov_b32_e32 v105, v5
	v_mov_b32_e32 v109, v7
	;; [unrolled: 1-line block ×4, first 2 shown]
.LBB0_9:
	s_load_dwordx2 s[0:1], s[4:5], 0x28
	s_lshl_b64 s[14:15], s[14:15], 3
	s_add_u32 s4, s18, s14
	s_addc_u32 s5, s19, s15
                                        ; implicit-def: $vgpr106
	s_waitcnt lgkmcnt(0)
	v_cmp_gt_u64_e32 vcc, s[0:1], v[108:109]
	v_cmp_le_u64_e64 s[0:1], s[0:1], v[108:109]
	s_and_saveexec_b64 s[6:7], s[0:1]
	s_xor_b64 s[0:1], exec, s[6:7]
; %bb.10:
	s_mov_b32 s6, 0x13b13b14
	v_mul_hi_u32 v1, v0, s6
                                        ; implicit-def: $vgpr4_vgpr5
	v_mul_u32_u24_e32 v1, 13, v1
	v_sub_u32_e32 v106, v0, v1
                                        ; implicit-def: $vgpr0
; %bb.11:
	s_or_saveexec_b64 s[6:7], s[0:1]
	s_load_dwordx2 s[4:5], s[4:5], 0x0
                                        ; implicit-def: $vgpr46_vgpr47
                                        ; implicit-def: $vgpr50_vgpr51
                                        ; implicit-def: $vgpr38_vgpr39
                                        ; implicit-def: $vgpr42_vgpr43
                                        ; implicit-def: $vgpr30_vgpr31
                                        ; implicit-def: $vgpr34_vgpr35
                                        ; implicit-def: $vgpr22_vgpr23
                                        ; implicit-def: $vgpr26_vgpr27
                                        ; implicit-def: $vgpr14_vgpr15
                                        ; implicit-def: $vgpr18_vgpr19
                                        ; implicit-def: $vgpr6_vgpr7
                                        ; implicit-def: $vgpr10_vgpr11
                                        ; implicit-def: $vgpr2_vgpr3
                                        ; implicit-def: $vgpr102_vgpr103
                                        ; implicit-def: $vgpr94_vgpr95
                                        ; implicit-def: $vgpr90_vgpr91
                                        ; implicit-def: $vgpr78_vgpr79
                                        ; implicit-def: $vgpr66_vgpr67
                                        ; implicit-def: $vgpr58_vgpr59
                                        ; implicit-def: $vgpr54_vgpr55
                                        ; implicit-def: $vgpr62_vgpr63
                                        ; implicit-def: $vgpr70_vgpr71
                                        ; implicit-def: $vgpr74_vgpr75
                                        ; implicit-def: $vgpr86_vgpr87
                                        ; implicit-def: $vgpr98_vgpr99
                                        ; implicit-def: $vgpr82_vgpr83
	s_xor_b64 exec, exec, s[6:7]
	s_cbranch_execz .LBB0_15
; %bb.12:
	s_add_u32 s0, s16, s14
	s_mov_b32 s14, 0x13b13b14
	s_addc_u32 s1, s17, s15
	v_mul_hi_u32 v1, v0, s14
	s_load_dwordx2 s[0:1], s[0:1], 0x0
                                        ; implicit-def: $vgpr16_vgpr17
                                        ; implicit-def: $vgpr12_vgpr13
                                        ; implicit-def: $vgpr24_vgpr25
                                        ; implicit-def: $vgpr20_vgpr21
                                        ; implicit-def: $vgpr32_vgpr33
                                        ; implicit-def: $vgpr28_vgpr29
                                        ; implicit-def: $vgpr40_vgpr41
                                        ; implicit-def: $vgpr36_vgpr37
                                        ; implicit-def: $vgpr48_vgpr49
                                        ; implicit-def: $vgpr44_vgpr45
	v_mul_u32_u24_e32 v1, 13, v1
	v_sub_u32_e32 v106, v0, v1
	s_waitcnt lgkmcnt(0)
	v_mul_lo_u32 v8, s1, v108
	v_mad_u64_u32 v[0:1], s[14:15], s20, v106, 0
	v_mul_lo_u32 v9, s0, v109
	v_mad_u64_u32 v[2:3], s[0:1], s0, v108, 0
	v_mad_u64_u32 v[6:7], s[0:1], s21, v106, v[1:2]
	v_add3_u32 v3, v3, v9, v8
	v_lshlrev_b64 v[2:3], 4, v[2:3]
	v_mov_b32_e32 v1, v6
	v_mov_b32_e32 v6, s9
	v_add_co_u32_e64 v7, s[0:1], s8, v2
	v_add_u32_e32 v8, 14, v106
	v_addc_co_u32_e64 v6, s[0:1], v6, v3, s[0:1]
	v_lshlrev_b64 v[2:3], 4, v[4:5]
	v_mad_u64_u32 v[4:5], s[0:1], s20, v8, 0
	v_add_co_u32_e64 v46, s[0:1], v7, v2
	v_mov_b32_e32 v2, v5
	v_addc_co_u32_e64 v47, s[0:1], v6, v3, s[0:1]
	v_mad_u64_u32 v[2:3], s[0:1], s21, v8, v[2:3]
	v_lshlrev_b64 v[0:1], 4, v[0:1]
	v_add_u32_e32 v6, 28, v106
	v_add_co_u32_e64 v0, s[0:1], v46, v0
	v_mov_b32_e32 v5, v2
	v_addc_co_u32_e64 v1, s[0:1], v47, v1, s[0:1]
	v_lshlrev_b64 v[2:3], 4, v[4:5]
	v_mad_u64_u32 v[4:5], s[0:1], s20, v6, 0
	v_add_co_u32_e64 v2, s[0:1], v46, v2
	v_addc_co_u32_e64 v3, s[0:1], v47, v3, s[0:1]
	v_mad_u64_u32 v[5:6], s[0:1], s21, v6, v[5:6]
	v_add_u32_e32 v8, 42, v106
	v_mad_u64_u32 v[6:7], s[0:1], s20, v8, 0
	global_load_dwordx4 v[80:83], v[0:1], off
	global_load_dwordx4 v[96:99], v[2:3], off
	v_lshlrev_b64 v[0:1], 4, v[4:5]
	v_mov_b32_e32 v2, v7
	v_mad_u64_u32 v[2:3], s[0:1], s21, v8, v[2:3]
	v_add_co_u32_e64 v0, s[0:1], v46, v0
	v_mov_b32_e32 v7, v2
	v_lshlrev_b64 v[2:3], 4, v[6:7]
	v_add_u32_e32 v6, 56, v106
	v_addc_co_u32_e64 v1, s[0:1], v47, v1, s[0:1]
	v_mad_u64_u32 v[4:5], s[0:1], s20, v6, 0
	v_add_co_u32_e64 v2, s[0:1], v46, v2
	v_addc_co_u32_e64 v3, s[0:1], v47, v3, s[0:1]
	v_mad_u64_u32 v[5:6], s[0:1], s21, v6, v[5:6]
	v_add_u32_e32 v8, 0x46, v106
	v_mad_u64_u32 v[6:7], s[0:1], s20, v8, 0
	global_load_dwordx4 v[84:87], v[0:1], off
	global_load_dwordx4 v[72:75], v[2:3], off
	v_lshlrev_b64 v[0:1], 4, v[4:5]
	v_mov_b32_e32 v2, v7
	v_mad_u64_u32 v[2:3], s[0:1], s21, v8, v[2:3]
	v_add_co_u32_e64 v0, s[0:1], v46, v0
	v_mov_b32_e32 v7, v2
	v_lshlrev_b64 v[2:3], 4, v[6:7]
	v_add_u32_e32 v6, 0x54, v106
	v_addc_co_u32_e64 v1, s[0:1], v47, v1, s[0:1]
	v_mad_u64_u32 v[4:5], s[0:1], s20, v6, 0
	v_add_co_u32_e64 v2, s[0:1], v46, v2
	v_addc_co_u32_e64 v3, s[0:1], v47, v3, s[0:1]
	v_mad_u64_u32 v[5:6], s[0:1], s21, v6, v[5:6]
	v_add_u32_e32 v8, 0x62, v106
	v_mad_u64_u32 v[6:7], s[0:1], s20, v8, 0
	global_load_dwordx4 v[68:71], v[0:1], off
	global_load_dwordx4 v[60:63], v[2:3], off
	v_lshlrev_b64 v[0:1], 4, v[4:5]
	v_mov_b32_e32 v2, v7
	v_mad_u64_u32 v[2:3], s[0:1], s21, v8, v[2:3]
	v_add_co_u32_e64 v0, s[0:1], v46, v0
	v_mov_b32_e32 v7, v2
	v_lshlrev_b64 v[2:3], 4, v[6:7]
	v_or_b32_e32 v6, 0x70, v106
	v_addc_co_u32_e64 v1, s[0:1], v47, v1, s[0:1]
	v_mad_u64_u32 v[4:5], s[0:1], s20, v6, 0
	v_add_co_u32_e64 v2, s[0:1], v46, v2
	v_addc_co_u32_e64 v3, s[0:1], v47, v3, s[0:1]
	v_mad_u64_u32 v[5:6], s[0:1], s21, v6, v[5:6]
	v_add_u32_e32 v8, 0x7e, v106
	v_mad_u64_u32 v[6:7], s[0:1], s20, v8, 0
	global_load_dwordx4 v[52:55], v[0:1], off
	global_load_dwordx4 v[56:59], v[2:3], off
	v_lshlrev_b64 v[0:1], 4, v[4:5]
	v_mov_b32_e32 v2, v7
	v_mad_u64_u32 v[2:3], s[0:1], s21, v8, v[2:3]
	v_add_co_u32_e64 v0, s[0:1], v46, v0
	v_mov_b32_e32 v7, v2
	v_lshlrev_b64 v[2:3], 4, v[6:7]
	v_add_u32_e32 v6, 0x8c, v106
	v_addc_co_u32_e64 v1, s[0:1], v47, v1, s[0:1]
	v_mad_u64_u32 v[4:5], s[0:1], s20, v6, 0
	v_add_co_u32_e64 v2, s[0:1], v46, v2
	v_addc_co_u32_e64 v3, s[0:1], v47, v3, s[0:1]
	v_mad_u64_u32 v[5:6], s[0:1], s21, v6, v[5:6]
	v_add_u32_e32 v8, 0x9a, v106
	v_mad_u64_u32 v[6:7], s[0:1], s20, v8, 0
	global_load_dwordx4 v[64:67], v[0:1], off
	global_load_dwordx4 v[76:79], v[2:3], off
	v_lshlrev_b64 v[0:1], 4, v[4:5]
	v_mov_b32_e32 v2, v7
	v_mad_u64_u32 v[2:3], s[0:1], s21, v8, v[2:3]
	v_add_u32_e32 v8, 0xa8, v106
	v_mad_u64_u32 v[3:4], s[0:1], s20, v8, 0
	v_add_co_u32_e64 v0, s[0:1], v46, v0
	v_mov_b32_e32 v7, v2
	v_mov_b32_e32 v2, v4
	v_addc_co_u32_e64 v1, s[0:1], v47, v1, s[0:1]
	v_lshlrev_b64 v[5:6], 4, v[6:7]
	v_mad_u64_u32 v[7:8], s[0:1], s21, v8, v[2:3]
	v_add_co_u32_e64 v4, s[0:1], v46, v5
	v_addc_co_u32_e64 v5, s[0:1], v47, v6, s[0:1]
	global_load_dwordx4 v[88:91], v[0:1], off
	global_load_dwordx4 v[92:95], v[4:5], off
	v_mov_b32_e32 v4, v7
	v_lshlrev_b64 v[0:1], 4, v[3:4]
                                        ; implicit-def: $vgpr8_vgpr9
                                        ; implicit-def: $vgpr4_vgpr5
	v_add_co_u32_e64 v0, s[0:1], v46, v0
	v_addc_co_u32_e64 v1, s[0:1], v47, v1, s[0:1]
	global_load_dwordx4 v[100:103], v[0:1], off
	v_cmp_eq_u32_e64 s[0:1], 0, v106
                                        ; implicit-def: $vgpr0_vgpr1
	s_and_saveexec_b64 s[8:9], s[0:1]
	s_cbranch_execz .LBB0_14
; %bb.13:
	v_mov_b32_e32 v0, 0xd0
	v_mad_u64_u32 v[0:1], s[0:1], s20, v0, v[46:47]
	s_mul_i32 s0, s21, 0xd0
	v_mov_b32_e32 v4, 0x1b0
	v_add_u32_e32 v1, s0, v1
	v_mad_u64_u32 v[12:13], s[0:1], s20, v4, v[46:47]
	v_mov_b32_e32 v4, 0x290
	v_mad_u64_u32 v[14:15], s[0:1], s20, v4, v[46:47]
	s_mul_i32 s0, s21, 0x1b0
	v_add_u32_e32 v13, s0, v13
	s_mul_i32 s0, s21, 0x290
	global_load_dwordx4 v[0:3], v[0:1], off
	v_add_u32_e32 v15, s0, v15
	global_load_dwordx4 v[8:11], v[12:13], off
	global_load_dwordx4 v[4:7], v[14:15], off
	v_mov_b32_e32 v12, 0x370
	v_mad_u64_u32 v[20:21], s[0:1], s20, v12, v[46:47]
	v_mov_b32_e32 v12, 0x450
	v_mad_u64_u32 v[22:23], s[0:1], s20, v12, v[46:47]
	s_mul_i32 s0, s21, 0x370
	v_add_u32_e32 v21, s0, v21
	s_mul_i32 s0, s21, 0x450
	v_add_u32_e32 v23, s0, v23
	global_load_dwordx4 v[16:19], v[20:21], off
	global_load_dwordx4 v[12:15], v[22:23], off
	v_mov_b32_e32 v20, 0x530
	v_mad_u64_u32 v[28:29], s[0:1], s20, v20, v[46:47]
	v_mov_b32_e32 v20, 0x610
	v_mad_u64_u32 v[30:31], s[0:1], s20, v20, v[46:47]
	s_mul_i32 s0, s21, 0x530
	v_add_u32_e32 v29, s0, v29
	s_mul_i32 s0, s21, 0x610
	;; [unrolled: 10-line block ×5, first 2 shown]
	v_add_u32_e32 v113, s0, v113
	global_load_dwordx4 v[48:51], v[110:111], off
	global_load_dwordx4 v[44:47], v[112:113], off
	v_mov_b32_e32 v106, 0
.LBB0_14:
	s_or_b64 exec, exec, s[8:9]
.LBB0_15:
	s_or_b64 exec, exec, s[6:7]
	s_waitcnt vmcnt(11)
	v_add_f64 v[110:111], v[96:97], v[80:81]
	v_add_f64 v[112:113], v[98:99], v[82:83]
	s_waitcnt vmcnt(0)
	v_add_f64 v[114:115], v[100:101], v[96:97]
	v_add_f64 v[116:117], v[102:103], v[98:99]
	v_add_f64 v[118:119], v[96:97], -v[100:101]
	v_add_f64 v[120:121], v[98:99], -v[102:103]
	s_mov_b32 s18, 0x66966769
	s_mov_b32 s22, 0x2ef20147
	v_add_f64 v[96:97], v[84:85], v[110:111]
	v_add_f64 v[98:99], v[86:87], v[112:113]
	s_mov_b32 s26, 0x24c2f84
	s_mov_b32 s19, 0xbfefc445
	s_mov_b32 s23, 0xbfedeba7
	s_mov_b32 s27, 0xbfe5384d
	v_mul_f64 v[128:129], v[118:119], s[18:19]
	v_mul_f64 v[130:131], v[120:121], s[22:23]
	v_add_f64 v[96:97], v[72:73], v[96:97]
	v_add_f64 v[98:99], v[74:75], v[98:99]
	v_mul_f64 v[132:133], v[118:119], s[22:23]
	v_mul_f64 v[134:135], v[120:121], s[26:27]
	;; [unrolled: 1-line block ×3, first 2 shown]
	s_mov_b32 s20, 0xebaa3ed8
	s_mov_b32 s24, 0xb2365da1
	;; [unrolled: 1-line block ×3, first 2 shown]
	v_add_f64 v[96:97], v[68:69], v[96:97]
	v_add_f64 v[98:99], v[70:71], v[98:99]
	s_mov_b32 s21, 0x3fbedb7d
	s_mov_b32 s25, 0xbfd6b1d8
	s_mov_b32 s29, 0xbfe7f3cc
	v_fma_f64 v[148:149], v[116:117], s[20:21], -v[128:129]
	v_fma_f64 v[128:129], v[116:117], s[20:21], v[128:129]
	v_fma_f64 v[150:151], v[114:115], s[24:25], v[130:131]
	v_add_f64 v[96:97], v[60:61], v[96:97]
	v_add_f64 v[98:99], v[62:63], v[98:99]
	v_fma_f64 v[152:153], v[116:117], s[24:25], -v[132:133]
	v_fma_f64 v[154:155], v[114:115], s[28:29], v[134:135]
	v_fma_f64 v[156:157], v[116:117], s[28:29], -v[136:137]
	s_mov_b32 s6, 0x4267c47c
	s_mov_b32 s14, 0x42a4c3d2
	;; [unrolled: 1-line block ×3, first 2 shown]
	v_add_f64 v[96:97], v[52:53], v[96:97]
	v_add_f64 v[98:99], v[54:55], v[98:99]
	s_mov_b32 s7, 0xbfddbe06
	s_mov_b32 s15, 0xbfea55e2
	;; [unrolled: 1-line block ×3, first 2 shown]
	v_mul_f64 v[110:111], v[120:121], s[6:7]
	v_mul_f64 v[112:113], v[118:119], s[6:7]
	;; [unrolled: 1-line block ×3, first 2 shown]
	v_add_f64 v[96:97], v[56:57], v[96:97]
	v_add_f64 v[98:99], v[58:59], v[98:99]
	v_mul_f64 v[124:125], v[118:119], s[14:15]
	v_mul_f64 v[126:127], v[120:121], s[18:19]
	;; [unrolled: 1-line block ×4, first 2 shown]
	s_mov_b32 s8, 0xe00740e9
	s_mov_b32 s16, 0x1ea71119
	v_add_f64 v[96:97], v[64:65], v[96:97]
	v_add_f64 v[98:99], v[66:67], v[98:99]
	s_mov_b32 s34, 0x93053d00
	s_mov_b32 s9, 0x3fec55a7
	;; [unrolled: 1-line block ×4, first 2 shown]
	v_fma_f64 v[138:139], v[114:115], s[8:9], v[110:111]
	v_fma_f64 v[140:141], v[116:117], s[8:9], -v[112:113]
	v_add_f64 v[96:97], v[76:77], v[96:97]
	v_add_f64 v[98:99], v[78:79], v[98:99]
	v_fma_f64 v[110:111], v[114:115], s[8:9], -v[110:111]
	v_fma_f64 v[112:113], v[116:117], s[8:9], v[112:113]
	v_fma_f64 v[142:143], v[114:115], s[16:17], v[122:123]
	v_fma_f64 v[144:145], v[116:117], s[16:17], -v[124:125]
	v_fma_f64 v[122:123], v[114:115], s[16:17], -v[122:123]
	v_fma_f64 v[124:125], v[116:117], s[16:17], v[124:125]
	v_add_f64 v[96:97], v[88:89], v[96:97]
	v_add_f64 v[98:99], v[90:91], v[98:99]
	v_fma_f64 v[146:147], v[114:115], s[20:21], v[126:127]
	v_fma_f64 v[126:127], v[114:115], s[20:21], -v[126:127]
	v_fma_f64 v[130:131], v[114:115], s[24:25], -v[130:131]
	v_fma_f64 v[132:133], v[116:117], s[24:25], v[132:133]
	v_fma_f64 v[134:135], v[114:115], s[28:29], -v[134:135]
	v_fma_f64 v[136:137], v[116:117], s[28:29], v[136:137]
	v_add_f64 v[96:97], v[92:93], v[96:97]
	v_add_f64 v[98:99], v[94:95], v[98:99]
	v_fma_f64 v[158:159], v[114:115], s[34:35], v[120:121]
	v_fma_f64 v[160:161], v[116:117], s[34:35], -v[118:119]
	v_fma_f64 v[114:115], v[114:115], s[34:35], -v[120:121]
	v_fma_f64 v[116:117], v[116:117], s[34:35], v[118:119]
	v_add_f64 v[138:139], v[80:81], v[138:139]
	v_add_f64 v[140:141], v[82:83], v[140:141]
	;; [unrolled: 1-line block ×9, first 2 shown]
	v_add_f64 v[154:155], v[86:87], -v[94:95]
	v_add_f64 v[156:157], v[84:85], -v[92:93]
	v_add_f64 v[84:85], v[92:93], v[84:85]
	v_add_f64 v[86:87], v[94:95], v[86:87]
	;; [unrolled: 1-line block ×6, first 2 shown]
	v_mul_f64 v[92:93], v[154:155], s[14:15]
	v_mul_f64 v[94:95], v[156:157], s[14:15]
	v_add_f64 v[122:123], v[80:81], v[122:123]
	v_add_f64 v[124:125], v[82:83], v[124:125]
	;; [unrolled: 1-line block ×9, first 2 shown]
	v_fma_f64 v[134:135], v[84:85], s[16:17], v[92:93]
	v_fma_f64 v[136:137], v[86:87], s[16:17], -v[94:95]
	v_add_f64 v[158:159], v[80:81], v[158:159]
	v_add_f64 v[160:161], v[82:83], v[160:161]
	;; [unrolled: 1-line block ×4, first 2 shown]
	v_mul_f64 v[114:115], v[154:155], s[22:23]
	v_mul_f64 v[116:117], v[156:157], s[22:23]
	v_add_f64 v[134:135], v[134:135], v[138:139]
	v_add_f64 v[136:137], v[136:137], v[140:141]
	v_mul_f64 v[138:139], v[154:155], s[30:31]
	v_mul_f64 v[140:141], v[156:157], s[30:31]
	v_fma_f64 v[92:93], v[84:85], s[16:17], -v[92:93]
	v_fma_f64 v[94:95], v[86:87], s[16:17], v[94:95]
	v_fma_f64 v[162:163], v[84:85], s[24:25], v[114:115]
	v_fma_f64 v[164:165], v[86:87], s[24:25], -v[116:117]
	s_mov_b32 s37, 0x3fe5384d
	s_mov_b32 s36, s26
	v_fma_f64 v[114:115], v[84:85], s[24:25], -v[114:115]
	v_fma_f64 v[116:117], v[86:87], s[24:25], v[116:117]
	v_fma_f64 v[166:167], v[84:85], s[34:35], v[138:139]
	v_fma_f64 v[168:169], v[86:87], s[34:35], -v[140:141]
	v_add_f64 v[92:93], v[92:93], v[110:111]
	v_add_f64 v[94:95], v[94:95], v[112:113]
	;; [unrolled: 1-line block ×4, first 2 shown]
	v_mul_f64 v[142:143], v[154:155], s[36:37]
	v_mul_f64 v[144:145], v[156:157], s[36:37]
	s_mov_b32 s39, 0x3fefc445
	s_mov_b32 s38, s18
	v_add_f64 v[114:115], v[114:115], v[122:123]
	v_add_f64 v[116:117], v[116:117], v[124:125]
	;; [unrolled: 1-line block ×4, first 2 shown]
	v_mul_f64 v[146:147], v[154:155], s[38:39]
	v_mul_f64 v[148:149], v[156:157], s[38:39]
	v_fma_f64 v[162:163], v[84:85], s[28:29], v[142:143]
	v_fma_f64 v[164:165], v[86:87], s[28:29], -v[144:145]
	v_fma_f64 v[142:143], v[84:85], s[28:29], -v[142:143]
	v_fma_f64 v[144:145], v[86:87], s[28:29], v[144:145]
	v_fma_f64 v[138:139], v[84:85], s[34:35], -v[138:139]
	v_fma_f64 v[140:141], v[86:87], s[34:35], v[140:141]
	v_fma_f64 v[166:167], v[84:85], s[20:21], v[146:147]
	v_fma_f64 v[168:169], v[86:87], s[20:21], -v[148:149]
	s_mov_b32 s41, 0x3fddbe06
	s_mov_b32 s40, s6
	v_add_f64 v[130:131], v[142:143], v[130:131]
	v_add_f64 v[132:133], v[144:145], v[132:133]
	v_add_f64 v[142:143], v[74:75], -v[90:91]
	v_add_f64 v[144:145], v[72:73], -v[88:89]
	v_add_f64 v[126:127], v[138:139], v[126:127]
	v_add_f64 v[100:101], v[140:141], v[100:101]
	;; [unrolled: 1-line block ×4, first 2 shown]
	v_mul_f64 v[150:151], v[154:155], s[40:41]
	v_mul_f64 v[152:153], v[156:157], s[40:41]
	v_add_f64 v[72:73], v[88:89], v[72:73]
	v_add_f64 v[74:75], v[90:91], v[74:75]
	v_mul_f64 v[88:89], v[142:143], s[18:19]
	v_mul_f64 v[90:91], v[144:145], s[18:19]
	v_fma_f64 v[146:147], v[84:85], s[20:21], -v[146:147]
	v_fma_f64 v[148:149], v[86:87], s[20:21], v[148:149]
	v_fma_f64 v[154:155], v[84:85], s[8:9], v[150:151]
	v_fma_f64 v[156:157], v[86:87], s[8:9], -v[152:153]
	v_fma_f64 v[84:85], v[84:85], s[8:9], -v[150:151]
	v_fma_f64 v[86:87], v[86:87], s[8:9], v[152:153]
	v_fma_f64 v[150:151], v[72:73], s[20:21], v[88:89]
	v_fma_f64 v[152:153], v[74:75], s[20:21], -v[90:91]
	s_mov_b32 s43, 0x3fedeba7
	s_mov_b32 s42, s22
	v_fma_f64 v[88:89], v[72:73], s[20:21], -v[88:89]
	v_fma_f64 v[90:91], v[74:75], s[20:21], v[90:91]
	v_add_f64 v[80:81], v[84:85], v[80:81]
	v_add_f64 v[82:83], v[86:87], v[82:83]
	;; [unrolled: 1-line block ×4, first 2 shown]
	v_mul_f64 v[134:135], v[142:143], s[30:31]
	v_mul_f64 v[136:137], v[144:145], s[30:31]
	;; [unrolled: 1-line block ×4, first 2 shown]
	v_add_f64 v[118:119], v[146:147], v[118:119]
	v_add_f64 v[120:121], v[148:149], v[120:121]
	;; [unrolled: 1-line block ×4, first 2 shown]
	v_fma_f64 v[154:155], v[72:73], s[34:35], v[134:135]
	v_fma_f64 v[156:157], v[74:75], s[34:35], -v[136:137]
	v_fma_f64 v[134:135], v[72:73], s[34:35], -v[134:135]
	v_fma_f64 v[136:137], v[74:75], s[34:35], v[136:137]
	v_add_f64 v[88:89], v[88:89], v[92:93]
	v_add_f64 v[90:91], v[90:91], v[94:95]
	v_fma_f64 v[92:93], v[72:73], s[24:25], v[150:151]
	v_fma_f64 v[94:95], v[74:75], s[24:25], -v[152:153]
	v_add_f64 v[110:111], v[154:155], v[110:111]
	v_add_f64 v[112:113], v[156:157], v[112:113]
	;; [unrolled: 1-line block ×4, first 2 shown]
	v_mul_f64 v[134:135], v[142:143], s[40:41]
	v_mul_f64 v[136:137], v[144:145], s[40:41]
	v_add_f64 v[92:93], v[92:93], v[122:123]
	v_add_f64 v[94:95], v[94:95], v[124:125]
	v_fma_f64 v[122:123], v[72:73], s[24:25], -v[150:151]
	v_fma_f64 v[124:125], v[74:75], s[24:25], v[152:153]
	v_mul_f64 v[150:151], v[142:143], s[14:15]
	v_mul_f64 v[152:153], v[144:145], s[14:15]
	v_fma_f64 v[154:155], v[72:73], s[8:9], v[134:135]
	v_fma_f64 v[156:157], v[74:75], s[8:9], -v[136:137]
	v_fma_f64 v[134:135], v[72:73], s[8:9], -v[134:135]
	v_fma_f64 v[136:137], v[74:75], s[8:9], v[136:137]
	v_add_f64 v[122:123], v[122:123], v[126:127]
	v_add_f64 v[100:101], v[124:125], v[100:101]
	v_fma_f64 v[124:125], v[72:73], s[16:17], v[150:151]
	v_fma_f64 v[126:127], v[74:75], s[16:17], -v[152:153]
	v_add_f64 v[102:103], v[162:163], v[102:103]
	v_add_f64 v[128:129], v[164:165], v[128:129]
	;; [unrolled: 1-line block ×4, first 2 shown]
	v_mul_f64 v[134:135], v[142:143], s[26:27]
	v_mul_f64 v[136:137], v[144:145], s[26:27]
	v_add_f64 v[124:125], v[124:125], v[138:139]
	v_add_f64 v[126:127], v[126:127], v[140:141]
	v_add_f64 v[138:139], v[70:71], -v[78:79]
	v_add_f64 v[140:141], v[68:69], -v[76:77]
	v_fma_f64 v[142:143], v[72:73], s[16:17], -v[150:151]
	v_fma_f64 v[144:145], v[74:75], s[16:17], v[152:153]
	v_fma_f64 v[150:151], v[72:73], s[28:29], v[134:135]
	v_fma_f64 v[152:153], v[74:75], s[28:29], -v[136:137]
	v_add_f64 v[68:69], v[76:77], v[68:69]
	v_add_f64 v[70:71], v[78:79], v[70:71]
	v_mul_f64 v[76:77], v[138:139], s[22:23]
	v_mul_f64 v[78:79], v[140:141], s[22:23]
	v_fma_f64 v[72:73], v[72:73], s[28:29], -v[134:135]
	v_fma_f64 v[74:75], v[74:75], s[28:29], v[136:137]
	v_add_f64 v[118:119], v[142:143], v[118:119]
	v_add_f64 v[120:121], v[144:145], v[120:121]
	;; [unrolled: 1-line block ×4, first 2 shown]
	v_fma_f64 v[142:143], v[68:69], s[24:25], v[76:77]
	v_fma_f64 v[144:145], v[70:71], s[24:25], -v[78:79]
	v_add_f64 v[72:73], v[72:73], v[80:81]
	v_add_f64 v[74:75], v[74:75], v[82:83]
	v_mul_f64 v[80:81], v[138:139], s[36:37]
	v_mul_f64 v[82:83], v[140:141], s[36:37]
	v_fma_f64 v[76:77], v[68:69], s[24:25], -v[76:77]
	v_fma_f64 v[78:79], v[70:71], s[24:25], v[78:79]
	v_add_f64 v[84:85], v[142:143], v[84:85]
	v_add_f64 v[86:87], v[144:145], v[86:87]
	v_mul_f64 v[142:143], v[138:139], s[40:41]
	v_mul_f64 v[144:145], v[140:141], s[40:41]
	v_fma_f64 v[146:147], v[68:69], s[28:29], v[80:81]
	v_fma_f64 v[148:149], v[70:71], s[28:29], -v[82:83]
	v_add_f64 v[76:77], v[76:77], v[88:89]
	v_add_f64 v[78:79], v[78:79], v[90:91]
	v_fma_f64 v[80:81], v[68:69], s[28:29], -v[80:81]
	v_fma_f64 v[82:83], v[70:71], s[28:29], v[82:83]
	v_fma_f64 v[88:89], v[68:69], s[8:9], v[142:143]
	v_fma_f64 v[90:91], v[70:71], s[8:9], -v[144:145]
	v_add_f64 v[110:111], v[146:147], v[110:111]
	v_add_f64 v[112:113], v[148:149], v[112:113]
	v_mul_f64 v[146:147], v[138:139], s[18:19]
	v_mul_f64 v[148:149], v[140:141], s[18:19]
	s_mov_b32 s45, 0x3fcea1e5
	s_mov_b32 s44, s30
	v_add_f64 v[102:103], v[154:155], v[102:103]
	v_add_f64 v[128:129], v[156:157], v[128:129]
	;; [unrolled: 1-line block ×6, first 2 shown]
	v_fma_f64 v[92:93], v[68:69], s[8:9], -v[142:143]
	v_fma_f64 v[94:95], v[70:71], s[8:9], v[144:145]
	v_fma_f64 v[114:115], v[68:69], s[20:21], v[146:147]
	v_fma_f64 v[116:117], v[70:71], s[20:21], -v[148:149]
	v_mul_f64 v[142:143], v[138:139], s[44:45]
	v_mul_f64 v[144:145], v[140:141], s[44:45]
	v_fma_f64 v[146:147], v[68:69], s[20:21], -v[146:147]
	v_fma_f64 v[148:149], v[70:71], s[20:21], v[148:149]
	s_mov_b32 s47, 0x3fea55e2
	v_add_f64 v[94:95], v[94:95], v[100:101]
	v_add_f64 v[100:101], v[114:115], v[102:103]
	;; [unrolled: 1-line block ×3, first 2 shown]
	v_fma_f64 v[114:115], v[68:69], s[34:35], v[142:143]
	v_fma_f64 v[116:117], v[70:71], s[34:35], -v[144:145]
	s_mov_b32 s46, s14
	v_add_f64 v[92:93], v[92:93], v[122:123]
	v_add_f64 v[122:123], v[146:147], v[130:131]
	;; [unrolled: 1-line block ×3, first 2 shown]
	v_mul_f64 v[130:131], v[138:139], s[46:47]
	v_mul_f64 v[132:133], v[140:141], s[46:47]
	v_add_f64 v[114:115], v[114:115], v[124:125]
	v_add_f64 v[116:117], v[116:117], v[126:127]
	v_add_f64 v[124:125], v[62:63], -v[66:67]
	v_add_f64 v[126:127], v[60:61], -v[64:65]
	v_fma_f64 v[138:139], v[68:69], s[34:35], -v[142:143]
	v_fma_f64 v[140:141], v[70:71], s[34:35], v[144:145]
	v_fma_f64 v[142:143], v[68:69], s[16:17], v[130:131]
	v_fma_f64 v[144:145], v[70:71], s[16:17], -v[132:133]
	v_add_f64 v[60:61], v[64:65], v[60:61]
	v_add_f64 v[62:63], v[66:67], v[62:63]
	v_mul_f64 v[64:65], v[124:125], s[26:27]
	v_mul_f64 v[66:67], v[126:127], s[26:27]
	v_fma_f64 v[68:69], v[68:69], s[16:17], -v[130:131]
	v_fma_f64 v[70:71], v[70:71], s[16:17], v[132:133]
	v_add_f64 v[130:131], v[142:143], v[134:135]
	v_add_f64 v[132:133], v[144:145], v[136:137]
	;; [unrolled: 1-line block ×4, first 2 shown]
	v_fma_f64 v[134:135], v[60:61], s[28:29], v[64:65]
	v_fma_f64 v[136:137], v[62:63], s[28:29], -v[66:67]
	v_add_f64 v[68:69], v[68:69], v[72:73]
	v_add_f64 v[70:71], v[70:71], v[74:75]
	v_mul_f64 v[72:73], v[124:125], s[38:39]
	v_mul_f64 v[74:75], v[126:127], s[38:39]
	v_fma_f64 v[64:65], v[60:61], s[28:29], -v[64:65]
	v_fma_f64 v[66:67], v[62:63], s[28:29], v[66:67]
	v_add_f64 v[84:85], v[134:135], v[84:85]
	v_add_f64 v[86:87], v[136:137], v[86:87]
	v_mul_f64 v[134:135], v[124:125], s[14:15]
	v_mul_f64 v[136:137], v[126:127], s[14:15]
	v_fma_f64 v[138:139], v[60:61], s[20:21], v[72:73]
	v_fma_f64 v[140:141], v[62:63], s[20:21], -v[74:75]
	v_fma_f64 v[72:73], v[60:61], s[20:21], -v[72:73]
	v_fma_f64 v[74:75], v[62:63], s[20:21], v[74:75]
	v_add_f64 v[64:65], v[64:65], v[76:77]
	v_add_f64 v[66:67], v[66:67], v[78:79]
	v_fma_f64 v[76:77], v[60:61], s[16:17], v[134:135]
	v_fma_f64 v[78:79], v[62:63], s[16:17], -v[136:137]
	v_add_f64 v[110:111], v[138:139], v[110:111]
	v_add_f64 v[112:113], v[140:141], v[112:113]
	v_mul_f64 v[140:141], v[126:127], s[44:45]
	v_add_f64 v[72:73], v[72:73], v[80:81]
	v_add_f64 v[74:75], v[74:75], v[82:83]
	v_fma_f64 v[80:81], v[60:61], s[16:17], -v[134:135]
	v_fma_f64 v[82:83], v[62:63], s[16:17], v[136:137]
	v_mul_f64 v[134:135], v[124:125], s[40:41]
	v_mul_f64 v[136:137], v[126:127], s[40:41]
	v_mul_f64 v[138:139], v[124:125], s[44:45]
	v_add_f64 v[78:79], v[78:79], v[90:91]
	v_fma_f64 v[90:91], v[62:63], s[34:35], -v[140:141]
	v_fma_f64 v[140:141], v[62:63], s[34:35], v[140:141]
	v_add_f64 v[80:81], v[80:81], v[92:93]
	v_add_f64 v[82:83], v[82:83], v[94:95]
	v_fma_f64 v[92:93], v[60:61], s[8:9], v[134:135]
	v_fma_f64 v[94:95], v[62:63], s[8:9], -v[136:137]
	v_add_f64 v[76:77], v[76:77], v[88:89]
	v_fma_f64 v[88:89], v[60:61], s[34:35], v[138:139]
	v_fma_f64 v[138:139], v[60:61], s[34:35], -v[138:139]
	v_add_f64 v[90:91], v[90:91], v[102:103]
	v_add_f64 v[102:103], v[140:141], v[128:129]
	v_fma_f64 v[128:129], v[62:63], s[8:9], v[136:137]
	v_mul_f64 v[126:127], v[126:127], s[22:23]
	v_add_f64 v[92:93], v[92:93], v[114:115]
	v_add_f64 v[94:95], v[94:95], v[116:117]
	v_add_f64 v[114:115], v[54:55], -v[58:59]
	v_add_f64 v[116:117], v[52:53], -v[56:57]
	v_add_f64 v[88:89], v[88:89], v[100:101]
	v_add_f64 v[100:101], v[138:139], v[122:123]
	v_fma_f64 v[122:123], v[60:61], s[8:9], -v[134:135]
	v_mul_f64 v[124:125], v[124:125], s[22:23]
	v_add_f64 v[120:121], v[128:129], v[120:121]
	v_fma_f64 v[128:129], v[62:63], s[24:25], -v[126:127]
	v_add_f64 v[134:135], v[56:57], v[52:53]
	v_add_f64 v[136:137], v[58:59], v[54:55]
	v_mul_f64 v[52:53], v[114:115], s[30:31]
	v_mul_f64 v[54:55], v[116:117], s[30:31]
	v_add_f64 v[118:119], v[122:123], v[118:119]
	v_fma_f64 v[122:123], v[60:61], s[24:25], v[124:125]
	v_fma_f64 v[56:57], v[60:61], s[24:25], -v[124:125]
	v_fma_f64 v[58:59], v[62:63], s[24:25], v[126:127]
	v_add_f64 v[124:125], v[128:129], v[132:133]
	v_mul_f64 v[126:127], v[114:115], s[40:41]
	v_mul_f64 v[128:129], v[116:117], s[40:41]
	v_fma_f64 v[60:61], v[134:135], s[34:35], v[52:53]
	v_fma_f64 v[62:63], v[136:137], s[34:35], -v[54:55]
	v_add_f64 v[122:123], v[122:123], v[130:131]
	v_add_f64 v[130:131], v[56:57], v[68:69]
	v_add_f64 v[132:133], v[58:59], v[70:71]
	v_fma_f64 v[56:57], v[134:135], s[34:35], -v[52:53]
	v_fma_f64 v[58:59], v[136:137], s[34:35], v[54:55]
	v_fma_f64 v[68:69], v[134:135], s[8:9], v[126:127]
	v_fma_f64 v[70:71], v[136:137], s[8:9], -v[128:129]
	v_add_f64 v[52:53], v[60:61], v[84:85]
	v_add_f64 v[54:55], v[62:63], v[86:87]
	v_mul_f64 v[84:85], v[114:115], s[26:27]
	v_mul_f64 v[86:87], v[116:117], s[26:27]
	v_add_f64 v[56:57], v[56:57], v[64:65]
	v_add_f64 v[58:59], v[58:59], v[66:67]
	;; [unrolled: 1-line block ×4, first 2 shown]
	v_mul_f64 v[110:111], v[114:115], s[46:47]
	v_mul_f64 v[112:113], v[116:117], s[46:47]
	v_fma_f64 v[68:69], v[134:135], s[28:29], v[84:85]
	v_fma_f64 v[70:71], v[136:137], s[28:29], -v[86:87]
	v_fma_f64 v[64:65], v[134:135], s[8:9], -v[126:127]
	v_fma_f64 v[66:67], v[136:137], s[8:9], v[128:129]
	v_fma_f64 v[84:85], v[134:135], s[28:29], -v[84:85]
	v_fma_f64 v[86:87], v[136:137], s[28:29], v[86:87]
	v_and_b32_e32 v107, 3, v107
	v_mul_u32_u24_e32 v107, 0xb6, v107
	v_add_f64 v[68:69], v[68:69], v[76:77]
	v_add_f64 v[70:71], v[70:71], v[78:79]
	v_fma_f64 v[76:77], v[134:135], s[16:17], v[110:111]
	v_fma_f64 v[78:79], v[136:137], s[16:17], -v[112:113]
	v_add_f64 v[64:65], v[64:65], v[72:73]
	v_add_f64 v[66:67], v[66:67], v[74:75]
	;; [unrolled: 1-line block ×4, first 2 shown]
	v_fma_f64 v[80:81], v[134:135], s[16:17], -v[110:111]
	v_fma_f64 v[82:83], v[136:137], s[16:17], v[112:113]
	v_mul_f64 v[84:85], v[114:115], s[22:23]
	v_mul_f64 v[86:87], v[116:117], s[22:23]
	v_add_f64 v[76:77], v[76:77], v[88:89]
	v_add_f64 v[78:79], v[78:79], v[90:91]
	v_mul_f64 v[88:89], v[114:115], s[38:39]
	v_mul_f64 v[90:91], v[116:117], s[38:39]
	v_add_f64 v[80:81], v[80:81], v[100:101]
	v_add_f64 v[82:83], v[82:83], v[102:103]
	v_fma_f64 v[100:101], v[134:135], s[24:25], v[84:85]
	v_fma_f64 v[102:103], v[136:137], s[24:25], -v[86:87]
	v_fma_f64 v[110:111], v[134:135], s[24:25], -v[84:85]
	v_fma_f64 v[112:113], v[136:137], s[24:25], v[86:87]
	v_fma_f64 v[114:115], v[134:135], s[20:21], v[88:89]
	v_fma_f64 v[116:117], v[136:137], s[20:21], -v[90:91]
	v_fma_f64 v[126:127], v[134:135], s[20:21], -v[88:89]
	v_fma_f64 v[128:129], v[136:137], s[20:21], v[90:91]
	v_add_f64 v[84:85], v[100:101], v[92:93]
	v_add_f64 v[86:87], v[102:103], v[94:95]
	;; [unrolled: 1-line block ×3, first 2 shown]
	v_mul_u32_u24_e32 v110, 0xd0, v106
	v_add_f64 v[92:93], v[114:115], v[122:123]
	v_add_f64 v[94:95], v[116:117], v[124:125]
	v_lshlrev_b32_e32 v118, 4, v107
	v_add_f64 v[100:101], v[126:127], v[130:131]
	v_add_f64 v[102:103], v[128:129], v[132:133]
	v_add3_u32 v110, 0, v110, v118
	v_cmp_eq_u32_e64 s[0:1], 0, v106
	v_add_f64 v[90:91], v[112:113], v[120:121]
	ds_write_b128 v110, v[96:99]
	ds_write_b128 v110, v[52:55] offset:16
	ds_write_b128 v110, v[60:63] offset:32
	;; [unrolled: 1-line block ×12, first 2 shown]
	s_and_saveexec_b64 s[48:49], s[0:1]
	s_cbranch_execz .LBB0_17
; %bb.16:
	v_add_f64 v[116:117], v[8:9], -v[44:45]
	v_add_f64 v[114:115], v[4:5], -v[48:49]
	v_add_f64 v[74:75], v[46:47], v[10:11]
	v_add_f64 v[96:97], v[44:45], v[8:9]
	v_add_f64 v[88:89], v[16:17], -v[36:37]
	v_add_f64 v[72:73], v[50:51], v[6:7]
	v_add_f64 v[94:95], v[48:49], v[4:5]
	v_add_f64 v[92:93], v[10:11], -v[46:47]
	v_mul_f64 v[52:53], v[116:117], s[30:31]
	v_mul_f64 v[54:55], v[114:115], s[40:41]
	v_add_f64 v[84:85], v[12:13], -v[40:41]
	v_mul_f64 v[60:61], v[96:97], s[34:35]
	v_add_f64 v[70:71], v[38:39], v[18:19]
	v_mul_f64 v[58:59], v[88:89], s[26:27]
	v_add_f64 v[102:103], v[36:37], v[16:17]
	v_add_f64 v[90:91], v[6:7], -v[50:51]
	v_fma_f64 v[56:57], v[74:75], s[34:35], v[52:53]
	v_fma_f64 v[62:63], v[72:73], s[8:9], v[54:55]
	v_mul_f64 v[119:120], v[94:95], s[8:9]
	v_fma_f64 v[121:122], v[92:93], s[44:45], v[60:61]
	v_fma_f64 v[52:53], v[74:75], s[34:35], -v[52:53]
	v_add_f64 v[78:79], v[24:25], -v[28:29]
	v_add_f64 v[68:69], v[42:43], v[14:15]
	v_add_f64 v[100:101], v[40:41], v[12:13]
	;; [unrolled: 1-line block ×3, first 2 shown]
	v_mul_f64 v[110:111], v[84:85], s[46:47]
	v_fma_f64 v[112:113], v[70:71], s[28:29], v[58:59]
	v_add_f64 v[86:87], v[18:19], -v[38:39]
	v_mul_f64 v[123:124], v[102:103], s[28:29]
	v_fma_f64 v[127:128], v[90:91], s[6:7], v[119:120]
	v_add_f64 v[121:122], v[0:1], v[121:122]
	v_fma_f64 v[54:55], v[72:73], s[8:9], -v[54:55]
	v_add_f64 v[56:57], v[62:63], v[56:57]
	v_add_f64 v[52:53], v[2:3], v[52:53]
	v_add_f64 v[76:77], v[20:21], -v[32:33]
	v_add_f64 v[66:67], v[30:31], v[26:27]
	v_add_f64 v[98:99], v[28:29], v[24:25]
	v_add_f64 v[82:83], v[14:15], -v[42:43]
	v_mul_f64 v[62:63], v[78:79], s[22:23]
	v_fma_f64 v[125:126], v[68:69], s[16:17], v[110:111]
	v_add_f64 v[56:57], v[112:113], v[56:57]
	v_mul_f64 v[131:132], v[100:101], s[16:17]
	v_fma_f64 v[135:136], v[86:87], s[36:37], v[123:124]
	v_add_f64 v[121:122], v[127:128], v[121:122]
	v_fma_f64 v[58:59], v[70:71], s[28:29], -v[58:59]
	v_fma_f64 v[60:61], v[92:93], s[30:31], v[60:61]
	v_add_f64 v[52:53], v[54:55], v[52:53]
	v_add_f64 v[64:65], v[34:35], v[22:23]
	;; [unrolled: 1-line block ×3, first 2 shown]
	v_mul_f64 v[129:130], v[76:77], s[38:39]
	v_fma_f64 v[133:134], v[66:67], s[24:25], v[62:63]
	v_add_f64 v[56:57], v[125:126], v[56:57]
	v_mul_f64 v[125:126], v[98:99], s[24:25]
	v_add_f64 v[112:113], v[26:27], -v[30:31]
	v_fma_f64 v[54:55], v[82:83], s[14:15], v[131:132]
	v_add_f64 v[121:122], v[135:136], v[121:122]
	v_fma_f64 v[135:136], v[68:69], s[16:17], -v[110:111]
	v_fma_f64 v[119:120], v[90:91], s[40:41], v[119:120]
	v_add_f64 v[60:61], v[0:1], v[60:61]
	v_add_f64 v[52:53], v[58:59], v[52:53]
	v_mul_f64 v[127:128], v[80:81], s[20:21]
	v_add_f64 v[110:111], v[22:23], -v[34:35]
	v_fma_f64 v[58:59], v[112:113], s[42:43], v[125:126]
	v_add_f64 v[54:55], v[54:55], v[121:122]
	v_fma_f64 v[121:122], v[64:65], s[20:21], v[129:130]
	v_fma_f64 v[62:63], v[66:67], s[24:25], -v[62:63]
	v_fma_f64 v[123:124], v[86:87], s[26:27], v[123:124]
	v_add_f64 v[60:61], v[119:120], v[60:61]
	v_add_f64 v[52:53], v[135:136], v[52:53]
	;; [unrolled: 1-line block ×3, first 2 shown]
	v_fma_f64 v[119:120], v[110:111], s[18:19], v[127:128]
	v_add_f64 v[58:59], v[58:59], v[54:55]
	v_fma_f64 v[129:130], v[64:65], s[20:21], -v[129:130]
	v_fma_f64 v[131:132], v[82:83], s[46:47], v[131:132]
	v_mul_f64 v[133:134], v[116:117], s[26:27]
	v_add_f64 v[60:61], v[123:124], v[60:61]
	v_add_f64 v[62:63], v[62:63], v[52:53]
	;; [unrolled: 1-line block ×3, first 2 shown]
	v_mul_f64 v[56:57], v[96:97], s[28:29]
	v_add_f64 v[52:53], v[119:120], v[58:59]
	v_fma_f64 v[119:120], v[112:113], s[22:23], v[125:126]
	v_mul_f64 v[121:122], v[114:115], s[38:39]
	v_fma_f64 v[123:124], v[74:75], s[28:29], v[133:134]
	v_add_f64 v[60:61], v[131:132], v[60:61]
	v_add_f64 v[58:59], v[129:130], v[62:63]
	v_mul_f64 v[62:63], v[94:95], s[20:21]
	v_fma_f64 v[125:126], v[92:93], s[36:37], v[56:57]
	v_mul_f64 v[129:130], v[88:89], s[14:15]
	v_mul_f64 v[137:138], v[84:85], s[44:45]
	v_fma_f64 v[131:132], v[72:73], s[20:21], v[121:122]
	v_add_f64 v[123:124], v[2:3], v[123:124]
	v_add_f64 v[60:61], v[119:120], v[60:61]
	v_mul_f64 v[119:120], v[102:103], s[16:17]
	v_fma_f64 v[135:136], v[90:91], s[18:19], v[62:63]
	v_add_f64 v[125:126], v[0:1], v[125:126]
	v_fma_f64 v[139:140], v[70:71], s[16:17], v[129:130]
	v_fma_f64 v[133:134], v[74:75], s[28:29], -v[133:134]
	v_mul_f64 v[141:142], v[100:101], s[34:35]
	v_add_f64 v[123:124], v[131:132], v[123:124]
	v_mul_f64 v[131:132], v[78:79], s[40:41]
	v_fma_f64 v[143:144], v[86:87], s[46:47], v[119:120]
	v_fma_f64 v[121:122], v[72:73], s[20:21], -v[121:122]
	v_add_f64 v[125:126], v[135:136], v[125:126]
	v_fma_f64 v[135:136], v[68:69], s[34:35], v[137:138]
	v_add_f64 v[133:134], v[2:3], v[133:134]
	v_mul_f64 v[145:146], v[98:99], s[8:9]
	v_add_f64 v[123:124], v[139:140], v[123:124]
	v_fma_f64 v[147:148], v[82:83], s[30:31], v[141:142]
	v_mul_f64 v[139:140], v[76:77], s[22:23]
	v_fma_f64 v[129:130], v[70:71], s[16:17], -v[129:130]
	v_add_f64 v[125:126], v[143:144], v[125:126]
	v_fma_f64 v[143:144], v[66:67], s[8:9], v[131:132]
	v_add_f64 v[121:122], v[121:122], v[133:134]
	v_mul_f64 v[133:134], v[80:81], s[24:25]
	v_add_f64 v[123:124], v[135:136], v[123:124]
	v_fma_f64 v[135:136], v[112:113], s[6:7], v[145:146]
	v_fma_f64 v[56:57], v[92:93], s[26:27], v[56:57]
	;; [unrolled: 1-line block ×3, first 2 shown]
	v_add_f64 v[125:126], v[147:148], v[125:126]
	v_fma_f64 v[147:148], v[64:65], s[24:25], v[139:140]
	v_fma_f64 v[137:138], v[68:69], s[34:35], -v[137:138]
	v_add_f64 v[121:122], v[129:130], v[121:122]
	v_add_f64 v[123:124], v[143:144], v[123:124]
	v_fma_f64 v[129:130], v[110:111], s[42:43], v[133:134]
	v_fma_f64 v[143:144], v[90:91], s[38:39], v[62:63]
	v_add_f64 v[149:150], v[0:1], v[56:57]
	v_add_f64 v[125:126], v[135:136], v[125:126]
	;; [unrolled: 1-line block ×3, first 2 shown]
	v_fma_f64 v[127:128], v[66:67], s[8:9], -v[131:132]
	v_add_f64 v[121:122], v[137:138], v[121:122]
	v_add_f64 v[62:63], v[147:148], v[123:124]
	v_fma_f64 v[119:120], v[86:87], s[14:15], v[119:120]
	v_mul_f64 v[123:124], v[116:117], s[22:23]
	v_add_f64 v[131:132], v[143:144], v[149:150]
	v_add_f64 v[60:61], v[129:130], v[125:126]
	v_mul_f64 v[129:130], v[96:97], s[24:25]
	v_fma_f64 v[125:126], v[64:65], s[24:25], -v[139:140]
	v_add_f64 v[121:122], v[127:128], v[121:122]
	v_fma_f64 v[127:128], v[82:83], s[44:45], v[141:142]
	v_mul_f64 v[135:136], v[114:115], s[36:37]
	v_fma_f64 v[137:138], v[74:75], s[24:25], v[123:124]
	v_add_f64 v[119:120], v[119:120], v[131:132]
	v_fma_f64 v[131:132], v[110:111], s[22:23], v[133:134]
	v_mul_f64 v[133:134], v[94:95], s[28:29]
	v_fma_f64 v[139:140], v[92:93], s[42:43], v[129:130]
	v_fma_f64 v[141:142], v[112:113], s[40:41], v[145:146]
	v_mul_f64 v[143:144], v[88:89], s[40:41]
	v_fma_f64 v[145:146], v[72:73], s[28:29], v[135:136]
	v_add_f64 v[137:138], v[2:3], v[137:138]
	v_add_f64 v[119:120], v[127:128], v[119:120]
	v_mul_f64 v[127:128], v[102:103], s[8:9]
	v_fma_f64 v[147:148], v[90:91], s[26:27], v[133:134]
	v_add_f64 v[139:140], v[0:1], v[139:140]
	v_fma_f64 v[123:124], v[74:75], s[24:25], -v[123:124]
	v_mul_f64 v[149:150], v[84:85], s[18:19]
	v_fma_f64 v[151:152], v[70:71], s[8:9], v[143:144]
	v_add_f64 v[137:138], v[145:146], v[137:138]
	v_mul_f64 v[153:154], v[100:101], s[20:21]
	v_fma_f64 v[155:156], v[86:87], s[6:7], v[127:128]
	v_fma_f64 v[135:136], v[72:73], s[28:29], -v[135:136]
	v_add_f64 v[139:140], v[147:148], v[139:140]
	v_add_f64 v[123:124], v[2:3], v[123:124]
	v_mul_f64 v[145:146], v[78:79], s[44:45]
	v_fma_f64 v[147:148], v[68:69], s[20:21], v[149:150]
	v_add_f64 v[137:138], v[151:152], v[137:138]
	v_mul_f64 v[157:158], v[98:99], s[34:35]
	v_fma_f64 v[159:160], v[82:83], s[38:39], v[153:154]
	v_fma_f64 v[143:144], v[70:71], s[8:9], -v[143:144]
	v_add_f64 v[139:140], v[155:156], v[139:140]
	v_add_f64 v[123:124], v[135:136], v[123:124]
	v_mul_f64 v[151:152], v[76:77], s[46:47]
	v_fma_f64 v[135:136], v[66:67], s[34:35], v[145:146]
	v_add_f64 v[137:138], v[147:148], v[137:138]
	v_add_f64 v[119:120], v[141:142], v[119:120]
	v_mul_f64 v[141:142], v[80:81], s[16:17]
	v_fma_f64 v[147:148], v[112:113], s[30:31], v[157:158]
	v_add_f64 v[139:140], v[159:160], v[139:140]
	v_fma_f64 v[149:150], v[68:69], s[20:21], -v[149:150]
	v_add_f64 v[123:124], v[143:144], v[123:124]
	v_fma_f64 v[143:144], v[64:65], s[16:17], v[151:152]
	v_add_f64 v[135:136], v[135:136], v[137:138]
	v_fma_f64 v[129:130], v[92:93], s[22:23], v[129:130]
	v_fma_f64 v[137:138], v[110:111], s[14:15], v[141:142]
	v_fma_f64 v[145:146], v[66:67], s[34:35], -v[145:146]
	v_add_f64 v[139:140], v[147:148], v[139:140]
	v_add_f64 v[119:120], v[131:132], v[119:120]
	v_add_f64 v[147:148], v[149:150], v[123:124]
	v_fma_f64 v[131:132], v[90:91], s[36:37], v[133:134]
	v_mul_f64 v[133:134], v[116:117], s[18:19]
	v_add_f64 v[121:122], v[125:126], v[121:122]
	v_add_f64 v[125:126], v[143:144], v[135:136]
	;; [unrolled: 1-line block ×4, first 2 shown]
	v_mul_f64 v[139:140], v[96:97], s[20:21]
	v_add_f64 v[137:138], v[145:146], v[147:148]
	v_mul_f64 v[143:144], v[114:115], s[30:31]
	v_fma_f64 v[145:146], v[74:75], s[20:21], v[133:134]
	v_fma_f64 v[135:136], v[64:65], s[16:17], -v[151:152]
	v_fma_f64 v[127:128], v[86:87], s[40:41], v[127:128]
	v_add_f64 v[129:130], v[131:132], v[129:130]
	v_fma_f64 v[131:132], v[110:111], s[46:47], v[141:142]
	v_fma_f64 v[141:142], v[82:83], s[18:19], v[153:154]
	v_mul_f64 v[147:148], v[88:89], s[42:43]
	v_mul_f64 v[149:150], v[94:95], s[34:35]
	v_fma_f64 v[151:152], v[92:93], s[38:39], v[139:140]
	v_fma_f64 v[153:154], v[72:73], s[34:35], v[143:144]
	v_add_f64 v[145:146], v[2:3], v[145:146]
	v_add_f64 v[127:128], v[127:128], v[129:130]
	v_fma_f64 v[129:130], v[112:113], s[44:45], v[157:158]
	v_mul_f64 v[155:156], v[84:85], s[40:41]
	v_mul_f64 v[157:158], v[102:103], s[24:25]
	v_fma_f64 v[159:160], v[90:91], s[44:45], v[149:150]
	v_add_f64 v[151:152], v[0:1], v[151:152]
	v_fma_f64 v[161:162], v[70:71], s[24:25], v[147:148]
	v_add_f64 v[145:146], v[153:154], v[145:146]
	v_add_f64 v[127:128], v[141:142], v[127:128]
	v_mul_f64 v[141:142], v[78:79], s[14:15]
	v_mul_f64 v[153:154], v[100:101], s[8:9]
	v_fma_f64 v[163:164], v[86:87], s[22:23], v[157:158]
	v_fma_f64 v[133:134], v[74:75], s[20:21], -v[133:134]
	v_add_f64 v[151:152], v[159:160], v[151:152]
	v_fma_f64 v[159:160], v[68:69], s[8:9], v[155:156]
	v_add_f64 v[145:146], v[161:162], v[145:146]
	v_mul_f64 v[161:162], v[76:77], s[26:27]
	v_mul_f64 v[165:166], v[98:99], s[16:17]
	v_fma_f64 v[167:168], v[82:83], s[6:7], v[153:154]
	v_fma_f64 v[143:144], v[72:73], s[34:35], -v[143:144]
	v_add_f64 v[133:134], v[2:3], v[133:134]
	v_add_f64 v[151:152], v[163:164], v[151:152]
	v_fma_f64 v[163:164], v[66:67], s[16:17], v[141:142]
	v_add_f64 v[145:146], v[159:160], v[145:146]
	v_add_f64 v[10:11], v[10:11], v[2:3]
	;; [unrolled: 1-line block ×3, first 2 shown]
	v_mul_f64 v[159:160], v[80:81], s[28:29]
	v_fma_f64 v[169:170], v[112:113], s[46:47], v[165:166]
	v_fma_f64 v[147:148], v[70:71], s[24:25], -v[147:148]
	v_add_f64 v[133:134], v[143:144], v[133:134]
	v_add_f64 v[143:144], v[167:168], v[151:152]
	v_fma_f64 v[151:152], v[64:65], s[28:29], v[161:162]
	v_add_f64 v[145:146], v[163:164], v[145:146]
	v_add_f64 v[6:7], v[6:7], v[10:11]
	v_add_f64 v[4:5], v[4:5], v[8:9]
	v_add_f64 v[127:128], v[129:130], v[127:128]
	v_add_f64 v[129:130], v[135:136], v[137:138]
	v_fma_f64 v[135:136], v[110:111], s[36:37], v[159:160]
	v_fma_f64 v[137:138], v[68:69], s[8:9], -v[155:156]
	v_fma_f64 v[139:140], v[92:93], s[18:19], v[139:140]
	v_add_f64 v[147:148], v[147:148], v[133:134]
	v_add_f64 v[143:144], v[169:170], v[143:144]
	;; [unrolled: 1-line block ×3, first 2 shown]
	v_mul_f64 v[145:146], v[116:117], s[14:15]
	v_add_f64 v[6:7], v[18:19], v[6:7]
	v_add_f64 v[4:5], v[16:17], v[4:5]
	;; [unrolled: 1-line block ×3, first 2 shown]
	v_fma_f64 v[141:142], v[66:67], s[16:17], -v[141:142]
	v_fma_f64 v[149:150], v[90:91], s[30:31], v[149:150]
	v_add_f64 v[139:140], v[0:1], v[139:140]
	v_add_f64 v[137:138], v[137:138], v[147:148]
	;; [unrolled: 1-line block ×3, first 2 shown]
	v_mul_f64 v[143:144], v[96:97], s[16:17]
	v_mul_f64 v[147:148], v[114:115], s[22:23]
	v_fma_f64 v[151:152], v[74:75], s[16:17], v[145:146]
	v_fma_f64 v[145:146], v[74:75], s[16:17], -v[145:146]
	v_add_f64 v[6:7], v[14:15], v[6:7]
	v_add_f64 v[12:13], v[12:13], v[4:5]
	v_fma_f64 v[135:136], v[64:65], s[28:29], -v[161:162]
	v_fma_f64 v[155:156], v[86:87], s[42:43], v[157:158]
	v_add_f64 v[139:140], v[149:150], v[139:140]
	v_add_f64 v[137:138], v[141:142], v[137:138]
	v_mul_f64 v[141:142], v[94:95], s[24:25]
	v_fma_f64 v[149:150], v[92:93], s[46:47], v[143:144]
	v_mul_f64 v[157:158], v[88:89], s[30:31]
	v_fma_f64 v[161:162], v[72:73], s[24:25], v[147:148]
	v_mul_f64 v[167:168], v[84:85], s[36:37]
	v_fma_f64 v[147:148], v[72:73], s[24:25], -v[147:148]
	v_add_f64 v[145:146], v[2:3], v[145:146]
	v_fma_f64 v[143:144], v[92:93], s[14:15], v[143:144]
	v_mul_f64 v[116:117], v[116:117], s[6:7]
	v_add_f64 v[6:7], v[26:27], v[6:7]
	v_add_f64 v[12:13], v[24:25], v[12:13]
	;; [unrolled: 1-line block ×3, first 2 shown]
	v_fma_f64 v[153:154], v[82:83], s[40:41], v[153:154]
	v_add_f64 v[139:140], v[155:156], v[139:140]
	v_mul_f64 v[155:156], v[102:103], s[34:35]
	v_fma_f64 v[163:164], v[90:91], s[42:43], v[141:142]
	v_add_f64 v[149:150], v[0:1], v[149:150]
	v_fma_f64 v[169:170], v[70:71], s[34:35], v[157:158]
	v_fma_f64 v[171:172], v[68:69], s[28:29], v[167:168]
	v_fma_f64 v[157:158], v[70:71], s[34:35], -v[157:158]
	v_add_f64 v[145:146], v[147:148], v[145:146]
	v_fma_f64 v[141:142], v[90:91], s[22:23], v[141:142]
	v_add_f64 v[143:144], v[0:1], v[143:144]
	v_fma_f64 v[147:148], v[68:69], s[28:29], -v[167:168]
	v_mul_f64 v[114:115], v[114:115], s[14:15]
	v_fma_f64 v[167:168], v[74:75], s[8:9], v[116:117]
	v_mul_f64 v[24:25], v[96:97], s[8:9]
	v_add_f64 v[6:7], v[22:23], v[6:7]
	v_add_f64 v[12:13], v[20:21], v[12:13]
	;; [unrolled: 1-line block ×3, first 2 shown]
	v_fma_f64 v[161:162], v[112:113], s[14:15], v[165:166]
	v_add_f64 v[139:140], v[153:154], v[139:140]
	v_mul_f64 v[153:154], v[100:101], s[28:29]
	v_fma_f64 v[165:166], v[86:87], s[44:45], v[155:156]
	v_add_f64 v[149:150], v[163:164], v[149:150]
	v_mul_f64 v[163:164], v[78:79], s[38:39]
	v_add_f64 v[145:146], v[157:158], v[145:146]
	v_fma_f64 v[155:156], v[86:87], s[30:31], v[155:156]
	v_add_f64 v[141:142], v[141:142], v[143:144]
	v_mul_f64 v[88:89], v[88:89], s[18:19]
	v_fma_f64 v[143:144], v[72:73], s[16:17], v[114:115]
	v_add_f64 v[157:158], v[2:3], v[167:168]
	v_fma_f64 v[74:75], v[74:75], s[8:9], -v[116:117]
	v_mul_f64 v[94:95], v[94:95], s[16:17]
	v_fma_f64 v[20:21], v[92:93], s[6:7], v[24:25]
	v_fma_f64 v[24:25], v[92:93], s[40:41], v[24:25]
	v_add_f64 v[6:7], v[34:35], v[6:7]
	v_add_f64 v[12:13], v[32:33], v[12:13]
	;; [unrolled: 1-line block ×3, first 2 shown]
	v_fma_f64 v[159:160], v[110:111], s[26:27], v[159:160]
	v_add_f64 v[139:140], v[161:162], v[139:140]
	v_add_f64 v[149:150], v[165:166], v[149:150]
	v_mul_f64 v[165:166], v[76:77], s[40:41]
	v_fma_f64 v[173:174], v[66:67], s[20:21], v[163:164]
	v_fma_f64 v[163:164], v[66:67], s[20:21], -v[163:164]
	v_add_f64 v[8:9], v[147:148], v[145:146]
	v_fma_f64 v[10:11], v[82:83], s[36:37], v[153:154]
	v_add_f64 v[141:142], v[155:156], v[141:142]
	v_mul_f64 v[84:85], v[84:85], s[22:23]
	v_fma_f64 v[145:146], v[70:71], s[20:21], v[88:89]
	v_add_f64 v[143:144], v[143:144], v[157:158]
	v_mul_f64 v[22:23], v[102:103], s[20:21]
	v_fma_f64 v[72:73], v[72:73], s[16:17], -v[114:115]
	v_add_f64 v[2:3], v[2:3], v[74:75]
	v_fma_f64 v[74:75], v[90:91], s[14:15], v[94:95]
	v_add_f64 v[20:21], v[0:1], v[20:21]
	v_fma_f64 v[32:33], v[90:91], s[46:47], v[94:95]
	v_add_f64 v[0:1], v[0:1], v[24:25]
	v_add_f64 v[6:7], v[30:31], v[6:7]
	;; [unrolled: 1-line block ×3, first 2 shown]
	v_mul_f64 v[161:162], v[98:99], s[20:21]
	v_add_f64 v[151:152], v[171:172], v[151:152]
	v_add_f64 v[137:138], v[135:136], v[137:138]
	v_mul_f64 v[171:172], v[80:81], s[8:9]
	v_add_f64 v[135:136], v[159:160], v[139:140]
	v_fma_f64 v[139:140], v[64:65], s[8:9], v[165:166]
	v_fma_f64 v[165:166], v[64:65], s[8:9], -v[165:166]
	v_add_f64 v[8:9], v[163:164], v[8:9]
	v_add_f64 v[10:11], v[10:11], v[141:142]
	v_mul_f64 v[18:19], v[78:79], s[26:27]
	v_fma_f64 v[78:79], v[68:69], s[24:25], v[84:85]
	v_add_f64 v[141:142], v[145:146], v[143:144]
	v_mul_f64 v[26:27], v[80:81], s[34:35]
	v_mul_f64 v[80:81], v[100:101], s[24:25]
	v_fma_f64 v[24:25], v[70:71], s[20:21], -v[88:89]
	v_add_f64 v[2:3], v[72:73], v[2:3]
	v_fma_f64 v[34:35], v[86:87], s[18:19], v[22:23]
	v_add_f64 v[20:21], v[74:75], v[20:21]
	v_fma_f64 v[22:23], v[86:87], s[38:39], v[22:23]
	v_add_f64 v[0:1], v[32:33], v[0:1]
	v_add_f64 v[6:7], v[42:43], v[6:7]
	;; [unrolled: 1-line block ×3, first 2 shown]
	v_fma_f64 v[16:17], v[112:113], s[38:39], v[161:162]
	v_add_f64 v[4:5], v[165:166], v[8:9]
	v_mul_f64 v[8:9], v[76:77], s[30:31]
	v_add_f64 v[76:77], v[78:79], v[141:142]
	v_mul_f64 v[78:79], v[98:99], s[28:29]
	v_fma_f64 v[28:29], v[68:69], s[24:25], -v[84:85]
	v_add_f64 v[2:3], v[24:25], v[2:3]
	v_fma_f64 v[24:25], v[82:83], s[22:23], v[80:81]
	v_add_f64 v[20:21], v[34:35], v[20:21]
	v_fma_f64 v[30:31], v[82:83], s[42:43], v[80:81]
	;; [unrolled: 2-line block ×3, first 2 shown]
	v_add_f64 v[6:7], v[38:39], v[6:7]
	v_add_f64 v[12:13], v[36:37], v[12:13]
	;; [unrolled: 1-line block ×3, first 2 shown]
	v_fma_f64 v[10:11], v[66:67], s[28:29], v[18:19]
	v_fma_f64 v[18:19], v[66:67], s[28:29], -v[18:19]
	v_add_f64 v[2:3], v[28:29], v[2:3]
	v_fma_f64 v[22:23], v[112:113], s[26:27], v[78:79]
	v_add_f64 v[20:21], v[24:25], v[20:21]
	v_fma_f64 v[24:25], v[112:113], s[36:37], v[78:79]
	;; [unrolled: 2-line block ×3, first 2 shown]
	v_add_f64 v[149:150], v[169:170], v[149:150]
	v_add_f64 v[6:7], v[50:51], v[6:7]
	;; [unrolled: 1-line block ×3, first 2 shown]
	v_fma_f64 v[28:29], v[64:65], s[34:35], -v[8:9]
	v_add_f64 v[2:3], v[18:19], v[2:3]
	v_fma_f64 v[18:19], v[110:111], s[30:31], v[26:27]
	v_add_f64 v[20:21], v[22:23], v[20:21]
	v_fma_f64 v[14:15], v[110:111], s[40:41], v[171:172]
	v_fma_f64 v[26:27], v[110:111], s[44:45], v[26:27]
	v_add_f64 v[0:1], v[24:25], v[0:1]
	v_add_f64 v[151:152], v[173:174], v[151:152]
	v_fma_f64 v[159:160], v[110:111], s[6:7], v[171:172]
	v_add_f64 v[149:150], v[175:176], v[149:150]
	v_fma_f64 v[22:23], v[64:65], s[34:35], v[8:9]
	v_add_f64 v[32:33], v[10:11], v[76:77]
	v_add_f64 v[12:13], v[46:47], v[6:7]
	;; [unrolled: 1-line block ×7, first 2 shown]
	v_lshl_add_u32 v0, v107, 4, 0
	v_add_f64 v[16:17], v[139:140], v[151:152]
	v_add_f64 v[14:15], v[159:160], v[149:150]
	;; [unrolled: 1-line block ×3, first 2 shown]
	ds_write_b128 v0, v[10:13] offset:2704
	ds_write_b128 v0, v[6:9] offset:2720
	;; [unrolled: 1-line block ×13, first 2 shown]
.LBB0_17:
	s_or_b64 exec, exec, s[48:49]
	v_mov_b32_e32 v107, 0
	v_lshlrev_b64 v[0:1], 4, v[106:107]
	v_mov_b32_e32 v2, s13
	v_add_co_u32_e64 v0, s[0:1], s12, v0
	v_addc_co_u32_e64 v1, s[0:1], v2, v1, s[0:1]
	v_add_u16_e32 v2, 26, v106
	s_movk_i32 s0, 0x4f
	v_mul_lo_u16_sdwa v3, v2, s0 dst_sel:DWORD dst_unused:UNUSED_PAD src0_sel:BYTE_0 src1_sel:DWORD
	v_lshrrev_b16_e32 v3, 10, v3
	v_mul_lo_u16_e32 v3, 13, v3
	v_sub_u16_e32 v2, v2, v3
	v_mov_b32_e32 v22, 4
	s_waitcnt lgkmcnt(0)
	; wave barrier
	s_waitcnt lgkmcnt(0)
	v_lshlrev_b32_sdwa v98, v22, v2 dst_sel:DWORD dst_unused:UNUSED_PAD src0_sel:DWORD src1_sel:BYTE_0
	global_load_dwordx4 v[2:5], v[0:1], off
	global_load_dwordx4 v[6:9], v98, s[12:13]
	v_add_u16_e32 v0, 39, v106
	v_mul_lo_u16_sdwa v1, v0, s0 dst_sel:DWORD dst_unused:UNUSED_PAD src0_sel:BYTE_0 src1_sel:DWORD
	v_lshrrev_b16_e32 v1, 10, v1
	v_mul_lo_u16_e32 v1, 13, v1
	v_sub_u16_e32 v0, v0, v1
	v_lshlrev_b32_sdwa v99, v22, v0 dst_sel:DWORD dst_unused:UNUSED_PAD src0_sel:DWORD src1_sel:BYTE_0
	v_add_u16_e32 v0, 52, v106
	v_mul_lo_u16_sdwa v1, v0, s0 dst_sel:DWORD dst_unused:UNUSED_PAD src0_sel:BYTE_0 src1_sel:DWORD
	v_lshrrev_b16_e32 v1, 10, v1
	v_mul_lo_u16_e32 v1, 13, v1
	v_sub_u16_e32 v0, v0, v1
	v_lshlrev_b32_sdwa v100, v22, v0 dst_sel:DWORD dst_unused:UNUSED_PAD src0_sel:DWORD src1_sel:BYTE_0
	;; [unrolled: 6-line block ×3, first 2 shown]
	v_add_u16_e32 v0, 0x4e, v106
	v_mul_lo_u16_sdwa v1, v0, s0 dst_sel:DWORD dst_unused:UNUSED_PAD src0_sel:BYTE_0 src1_sel:DWORD
	v_lshrrev_b16_e32 v1, 10, v1
	v_mul_lo_u16_e32 v1, 13, v1
	global_load_dwordx4 v[10:13], v99, s[12:13]
	global_load_dwordx4 v[14:17], v100, s[12:13]
	v_sub_u16_e32 v0, v0, v1
	global_load_dwordx4 v[18:21], v101, s[12:13]
	v_lshlrev_b32_sdwa v102, v22, v0 dst_sel:DWORD dst_unused:UNUSED_PAD src0_sel:DWORD src1_sel:BYTE_0
	global_load_dwordx4 v[22:25], v102, s[12:13]
	v_add_u32_e32 v103, 0, v118
	v_lshlrev_b32_e32 v1, 4, v106
	v_add_u32_e32 v0, v103, v1
	v_add3_u32 v1, 0, v1, v118
	ds_read_b128 v[26:29], v1 offset:1456
	ds_read_b128 v[30:33], v0
	ds_read_b128 v[34:37], v1 offset:208
	ds_read_b128 v[38:41], v1 offset:1664
	;; [unrolled: 1-line block ×12, first 2 shown]
	s_waitcnt lgkmcnt(0)
	; wave barrier
	s_waitcnt vmcnt(5) lgkmcnt(0)
	v_mul_f64 v[82:83], v[28:29], v[4:5]
	v_mul_f64 v[84:85], v[26:27], v[4:5]
	;; [unrolled: 1-line block ×4, first 2 shown]
	s_waitcnt vmcnt(4)
	v_mul_f64 v[88:89], v[44:45], v[8:9]
	v_mul_f64 v[8:9], v[42:43], v[8:9]
	v_fma_f64 v[26:27], v[26:27], v[2:3], v[82:83]
	v_fma_f64 v[28:29], v[28:29], v[2:3], -v[84:85]
	v_fma_f64 v[38:39], v[38:39], v[2:3], v[86:87]
	v_fma_f64 v[40:41], v[40:41], v[2:3], -v[4:5]
	;; [unrolled: 2-line block ×3, first 2 shown]
	v_add_f64 v[2:3], v[30:31], -v[26:27]
	v_add_f64 v[4:5], v[32:33], -v[28:29]
	;; [unrolled: 1-line block ×4, first 2 shown]
	s_waitcnt vmcnt(3)
	v_mul_f64 v[90:91], v[56:57], v[12:13]
	v_mul_f64 v[12:13], v[54:55], v[12:13]
	s_waitcnt vmcnt(2)
	v_mul_f64 v[92:93], v[60:61], v[16:17]
	v_mul_f64 v[16:17], v[58:59], v[16:17]
	;; [unrolled: 3-line block ×4, first 2 shown]
	v_fma_f64 v[54:55], v[54:55], v[10:11], v[90:91]
	v_fma_f64 v[56:57], v[56:57], v[10:11], -v[12:13]
	v_fma_f64 v[58:59], v[58:59], v[14:15], v[92:93]
	v_fma_f64 v[60:61], v[60:61], v[14:15], -v[16:17]
	v_fma_f64 v[74:75], v[74:75], v[18:19], v[94:95]
	v_fma_f64 v[76:77], v[76:77], v[18:19], -v[20:21]
	v_fma_f64 v[78:79], v[78:79], v[22:23], v[96:97]
	v_fma_f64 v[80:81], v[80:81], v[22:23], -v[24:25]
	v_add_f64 v[10:11], v[46:47], -v[42:43]
	v_add_f64 v[12:13], v[48:49], -v[44:45]
	v_add_f64 v[14:15], v[50:51], -v[54:55]
	v_add_f64 v[16:17], v[52:53], -v[56:57]
	v_add_f64 v[18:19], v[62:63], -v[58:59]
	v_add_f64 v[20:21], v[64:65], -v[60:61]
	v_add_f64 v[22:23], v[66:67], -v[74:75]
	v_add_f64 v[24:25], v[68:69], -v[76:77]
	v_add_f64 v[38:39], v[70:71], -v[78:79]
	v_add_f64 v[40:41], v[72:73], -v[80:81]
	v_fma_f64 v[26:27], v[30:31], 2.0, -v[2:3]
	v_fma_f64 v[28:29], v[32:33], 2.0, -v[4:5]
	;; [unrolled: 1-line block ×14, first 2 shown]
	ds_write_b128 v1, v[26:29]
	ds_write_b128 v1, v[2:5] offset:208
	ds_write_b128 v1, v[30:33] offset:416
	ds_write_b128 v1, v[6:9] offset:624
	v_add_u32_e32 v2, v103, v98
	ds_write_b128 v2, v[34:37] offset:832
	ds_write_b128 v2, v[10:13] offset:1040
	v_add_u32_e32 v2, v103, v99
	ds_write_b128 v2, v[42:45] offset:1248
	ds_write_b128 v2, v[14:17] offset:1456
	;; [unrolled: 3-line block ×5, first 2 shown]
	s_waitcnt lgkmcnt(0)
	; wave barrier
	s_waitcnt lgkmcnt(0)
	s_and_saveexec_b64 s[0:1], vcc
	s_cbranch_execz .LBB0_19
; %bb.18:
	v_add_u32_e32 v2, 13, v106
	v_mul_u32_u24_e32 v2, 6, v2
	v_lshlrev_b32_e32 v26, 4, v2
	global_load_dwordx4 v[2:5], v26, s[12:13] offset:256
	global_load_dwordx4 v[6:9], v26, s[12:13] offset:240
	;; [unrolled: 1-line block ×6, first 2 shown]
	v_mul_u32_u24_e32 v26, 6, v106
	v_lshlrev_b32_e32 v111, 4, v26
	global_load_dwordx4 v[26:29], v111, s[12:13] offset:256
	v_mul_lo_u32 v121, s5, v108
	v_mul_lo_u32 v122, s4, v109
	v_mad_u64_u32 v[102:103], s[0:1], s4, v108, 0
	ds_read_b128 v[30:33], v1 offset:1872
	ds_read_b128 v[34:37], v1 offset:1664
	;; [unrolled: 1-line block ×13, first 2 shown]
	ds_read_b128 v[82:85], v0
	global_load_dwordx4 v[86:89], v111, s[12:13] offset:240
	global_load_dwordx4 v[90:93], v111, s[12:13] offset:224
	;; [unrolled: 1-line block ×5, first 2 shown]
	s_mov_b32 s22, 0xe976ee23
	s_mov_b32 s4, 0x429ad128
	;; [unrolled: 1-line block ×20, first 2 shown]
	v_add3_u32 v103, v103, v122, v121
	s_waitcnt vmcnt(11) lgkmcnt(13)
	v_mul_f64 v[0:1], v[4:5], v[32:33]
	s_waitcnt vmcnt(10) lgkmcnt(11)
	v_mul_f64 v[111:112], v[8:9], v[40:41]
	;; [unrolled: 2-line block ×6, first 2 shown]
	v_mul_f64 v[8:9], v[38:39], v[8:9]
	v_mul_f64 v[4:5], v[30:31], v[4:5]
	v_mul_f64 v[12:13], v[46:47], v[12:13]
	v_mul_f64 v[16:17], v[54:55], v[16:17]
	v_mul_f64 v[20:21], v[62:63], v[20:21]
	v_mul_f64 v[24:25], v[70:71], v[24:25]
	v_fma_f64 v[0:1], v[2:3], v[30:31], v[0:1]
	v_fma_f64 v[30:31], v[6:7], v[38:39], v[111:112]
	v_fma_f64 v[38:39], v[10:11], v[46:47], v[113:114]
	v_fma_f64 v[46:47], v[14:15], v[54:55], v[115:116]
	v_fma_f64 v[54:55], v[18:19], v[62:63], v[117:118]
	v_fma_f64 v[62:63], v[22:23], v[70:71], v[119:120]
	v_fma_f64 v[6:7], v[6:7], v[40:41], -v[8:9]
	v_fma_f64 v[2:3], v[2:3], v[32:33], -v[4:5]
	;; [unrolled: 1-line block ×6, first 2 shown]
	v_add_f64 v[16:17], v[0:1], -v[30:31]
	v_add_f64 v[18:19], v[38:39], -v[46:47]
	;; [unrolled: 1-line block ×3, first 2 shown]
	v_add_f64 v[0:1], v[0:1], v[30:31]
	v_add_f64 v[30:31], v[38:39], v[46:47]
	;; [unrolled: 1-line block ×6, first 2 shown]
	v_add_f64 v[2:3], v[2:3], -v[6:7]
	v_add_f64 v[4:5], v[4:5], -v[8:9]
	;; [unrolled: 1-line block ×3, first 2 shown]
	v_add_f64 v[8:9], v[16:17], v[18:19]
	v_add_f64 v[10:11], v[16:17], -v[18:19]
	v_add_f64 v[56:57], v[30:31], v[38:39]
	v_add_f64 v[46:47], v[24:25], v[32:33]
	v_add_f64 v[18:19], v[18:19], -v[20:21]
	v_add_f64 v[12:13], v[20:21], -v[16:17]
	;; [unrolled: 1-line block ×6, first 2 shown]
	v_add_f64 v[62:63], v[2:3], v[4:5]
	v_add_f64 v[64:65], v[2:3], -v[4:5]
	v_add_f64 v[30:31], v[30:31], -v[38:39]
	;; [unrolled: 1-line block ×3, first 2 shown]
	v_mul_f64 v[10:11], v[10:11], s[22:23]
	v_add_f64 v[22:23], v[22:23], v[46:47]
	v_add_f64 v[38:39], v[0:1], v[56:57]
	v_mul_f64 v[56:57], v[18:19], s[4:5]
	v_add_f64 v[70:71], v[6:7], -v[2:3]
	v_add_f64 v[24:25], v[24:25], -v[32:33]
	v_add_f64 v[8:9], v[8:9], v[20:21]
	v_mul_f64 v[20:21], v[16:17], s[14:15]
	v_mul_f64 v[32:33], v[40:41], s[24:25]
	;; [unrolled: 1-line block ×3, first 2 shown]
	v_add_f64 v[54:55], v[62:63], v[6:7]
	v_mul_f64 v[6:7], v[64:65], s[22:23]
	v_mul_f64 v[62:63], v[4:5], s[4:5]
	s_waitcnt lgkmcnt(1)
	v_add_f64 v[2:3], v[80:81], v[22:23]
	v_add_f64 v[0:1], v[78:79], v[38:39]
	v_fma_f64 v[64:65], v[12:13], s[18:19], v[10:11]
	v_fma_f64 v[12:13], v[12:13], s[8:9], -v[56:57]
	v_mul_f64 v[40:41], v[48:49], s[14:15]
	v_fma_f64 v[16:17], v[16:17], s[14:15], v[32:33]
	v_fma_f64 v[48:49], v[48:49], s[14:15], v[46:47]
	;; [unrolled: 1-line block ×3, first 2 shown]
	v_fma_f64 v[32:33], v[24:25], s[16:17], -v[32:33]
	v_fma_f64 v[22:23], v[22:23], s[20:21], v[2:3]
	v_fma_f64 v[38:39], v[38:39], s[20:21], v[0:1]
	v_fma_f64 v[46:47], v[30:31], s[16:17], -v[46:47]
	v_fma_f64 v[56:57], v[70:71], s[8:9], -v[62:63]
	;; [unrolled: 1-line block ×3, first 2 shown]
	v_fma_f64 v[24:25], v[8:9], s[0:1], v[64:65]
	v_fma_f64 v[64:65], v[8:9], s[0:1], v[12:13]
	v_fma_f64 v[12:13], v[18:19], s[4:5], -v[10:11]
	s_waitcnt vmcnt(5)
	v_mul_f64 v[14:15], v[28:29], v[36:37]
	v_fma_f64 v[62:63], v[54:55], s[0:1], v[72:73]
	v_add_f64 v[70:71], v[16:17], v[22:23]
	v_add_f64 v[32:33], v[32:33], v[22:23]
	v_fma_f64 v[16:17], v[4:5], s[4:5], -v[6:7]
	v_fma_f64 v[18:19], v[30:31], s[6:7], -v[40:41]
	v_fma_f64 v[30:31], v[54:55], s[0:1], v[56:57]
	v_add_f64 v[40:41], v[46:47], v[38:39]
	s_waitcnt vmcnt(4)
	v_mul_f64 v[46:47], v[88:89], v[44:45]
	s_waitcnt vmcnt(3)
	v_mul_f64 v[56:57], v[92:93], v[52:53]
	v_add_f64 v[20:21], v[20:21], v[22:23]
	v_fma_f64 v[22:23], v[8:9], s[0:1], v[12:13]
	s_waitcnt vmcnt(0)
	v_mul_f64 v[8:9], v[109:110], v[60:61]
	v_mul_f64 v[72:73], v[96:97], v[68:69]
	v_add_f64 v[48:49], v[48:49], v[38:39]
	v_fma_f64 v[16:17], v[54:55], s[0:1], v[16:17]
	v_add_f64 v[38:39], v[18:19], v[38:39]
	v_fma_f64 v[54:55], v[26:27], v[34:35], v[14:15]
	v_fma_f64 v[46:47], v[86:87], v[42:43], v[46:47]
	;; [unrolled: 1-line block ×3, first 2 shown]
	v_mul_f64 v[78:79], v[100:101], v[76:77]
	v_fma_f64 v[80:81], v[107:108], v[58:59], v[8:9]
	v_add_f64 v[14:15], v[20:21], -v[22:23]
	v_add_f64 v[18:19], v[22:23], v[20:21]
	v_fma_f64 v[72:73], v[94:95], v[66:67], v[72:73]
	v_mul_f64 v[22:23], v[42:43], v[88:89]
	v_mul_f64 v[42:43], v[50:51], v[92:93]
	;; [unrolled: 1-line block ×5, first 2 shown]
	v_fma_f64 v[78:79], v[98:99], v[74:75], v[78:79]
	v_mul_f64 v[28:29], v[34:35], v[28:29]
	v_add_f64 v[20:21], v[54:55], -v[46:47]
	v_add_f64 v[111:112], v[56:57], -v[80:81]
	v_fma_f64 v[42:43], v[90:91], v[52:53], -v[42:43]
	v_fma_f64 v[50:51], v[107:108], v[60:61], -v[50:51]
	;; [unrolled: 1-line block ×4, first 2 shown]
	v_add_f64 v[10:11], v[64:65], v[32:33]
	v_add_f64 v[34:35], v[72:73], -v[78:79]
	v_fma_f64 v[44:45], v[86:87], v[44:45], -v[22:23]
	v_fma_f64 v[28:29], v[26:27], v[36:37], -v[28:29]
	v_add_f64 v[22:23], v[32:33], -v[64:65]
	v_add_f64 v[60:61], v[42:43], v[50:51]
	v_add_f64 v[74:75], v[20:21], -v[111:112]
	v_add_f64 v[64:65], v[52:53], v[58:59]
	v_add_f64 v[56:57], v[56:57], v[80:81]
	;; [unrolled: 1-line block ×4, first 2 shown]
	v_add_f64 v[8:9], v[40:41], -v[30:31]
	v_add_f64 v[12:13], v[16:17], v[38:39]
	v_add_f64 v[16:17], v[38:39], -v[16:17]
	v_add_f64 v[32:33], v[20:21], v[111:112]
	;; [unrolled: 2-line block ×3, first 2 shown]
	v_add_f64 v[20:21], v[30:31], v[40:41]
	v_add_f64 v[40:41], v[60:61], v[64:65]
	v_add_f64 v[44:45], v[28:29], -v[44:45]
	v_add_f64 v[42:43], v[42:43], -v[50:51]
	;; [unrolled: 1-line block ×3, first 2 shown]
	v_mul_f64 v[36:37], v[74:75], s[22:23]
	v_add_f64 v[6:7], v[24:25], v[70:71]
	v_add_f64 v[4:5], v[48:49], -v[62:63]
	v_add_f64 v[26:27], v[70:71], -v[24:25]
	v_add_f64 v[54:55], v[56:57], v[68:69]
	v_add_f64 v[24:25], v[62:63], v[48:49]
	v_add_f64 v[48:49], v[68:69], -v[46:47]
	v_add_f64 v[70:71], v[66:67], -v[60:61]
	;; [unrolled: 1-line block ×3, first 2 shown]
	v_add_f64 v[40:41], v[66:67], v[40:41]
	v_add_f64 v[66:67], v[44:45], -v[42:43]
	v_add_f64 v[72:73], v[44:45], v[42:43]
	v_add_f64 v[42:43], v[42:43], -v[52:53]
	v_add_f64 v[32:33], v[32:33], v[34:35]
	v_fma_f64 v[30:31], v[38:39], s[18:19], v[36:37]
	v_add_f64 v[50:51], v[46:47], v[54:55]
	v_add_f64 v[46:47], v[46:47], -v[56:57]
	v_mul_f64 v[48:49], v[48:49], s[24:25]
	v_add_f64 v[34:35], v[111:112], -v[34:35]
	v_mul_f64 v[66:67], v[66:67], s[22:23]
	v_add_f64 v[44:45], v[52:53], -v[44:45]
	v_add_f64 v[60:61], v[60:61], -v[64:65]
	v_mul_f64 v[64:65], v[42:43], s[4:5]
	v_fma_f64 v[62:63], v[32:33], s[0:1], v[30:31]
	v_mul_f64 v[54:55], v[70:71], s[14:15]
	s_waitcnt lgkmcnt(0)
	v_add_f64 v[30:31], v[84:85], v[40:41]
	v_mul_f64 v[58:59], v[28:29], s[24:25]
	v_add_f64 v[28:29], v[82:83], v[50:51]
	v_fma_f64 v[74:75], v[46:47], s[14:15], v[48:49]
	v_add_f64 v[56:57], v[56:57], -v[68:69]
	v_mul_f64 v[46:47], v[46:47], s[14:15]
	v_mul_f64 v[76:77], v[34:35], s[4:5]
	v_add_f64 v[52:53], v[72:73], v[52:53]
	v_fma_f64 v[72:73], v[44:45], s[18:19], v[66:67]
	v_fma_f64 v[44:45], v[44:45], s[8:9], -v[64:65]
	v_fma_f64 v[34:35], v[34:35], s[4:5], -v[36:37]
	;; [unrolled: 1-line block ×3, first 2 shown]
	v_fma_f64 v[40:41], v[40:41], s[20:21], v[30:31]
	v_fma_f64 v[54:55], v[60:61], s[6:7], -v[54:55]
	v_fma_f64 v[70:71], v[70:71], s[14:15], v[58:59]
	v_fma_f64 v[50:51], v[50:51], s[20:21], v[28:29]
	v_fma_f64 v[48:49], v[56:57], s[16:17], -v[48:49]
	v_fma_f64 v[42:43], v[56:57], s[6:7], -v[46:47]
	;; [unrolled: 1-line block ×4, first 2 shown]
	s_mov_b32 s4, 0x4ec4ec4f
	v_fma_f64 v[72:73], v[52:53], s[0:1], v[72:73]
	v_fma_f64 v[60:61], v[52:53], s[0:1], v[44:45]
	;; [unrolled: 1-line block ×3, first 2 shown]
	v_mul_hi_u32 v36, v106, s4
	v_add_f64 v[44:45], v[54:55], v[40:41]
	v_add_f64 v[68:69], v[70:71], v[40:41]
	;; [unrolled: 1-line block ×3, first 2 shown]
	v_lshrrev_b32_e32 v36, 3, v36
	v_mul_lo_u32 v54, v36, 26
	v_add_f64 v[48:49], v[48:49], v[50:51]
	v_fma_f64 v[46:47], v[32:33], s[0:1], v[34:35]
	v_add_f64 v[50:51], v[42:43], v[50:51]
	v_fma_f64 v[56:57], v[32:33], s[0:1], v[38:39]
	v_add_f64 v[58:59], v[58:59], v[40:41]
	v_sub_u32_e32 v66, v106, v54
	v_mad_u64_u32 v[64:65], s[0:1], s2, v66, 0
	v_add_f64 v[36:37], v[48:49], -v[60:61]
	v_add_f64 v[42:43], v[44:45], -v[46:47]
	v_add_f64 v[40:41], v[52:53], v[50:51]
	v_add_f64 v[46:47], v[46:47], v[44:45]
	v_add_f64 v[44:45], v[50:51], -v[52:53]
	v_mov_b32_e32 v52, v65
	v_add_f64 v[38:39], v[56:57], v[58:59]
	v_add_f64 v[50:51], v[58:59], -v[56:57]
	v_mad_u64_u32 v[56:57], s[0:1], s3, v66, v[52:53]
	v_add_f64 v[48:49], v[60:61], v[48:49]
	v_mov_b32_e32 v58, s11
	v_mov_b32_e32 v65, v56
	v_lshlrev_b64 v[56:57], 4, v[102:103]
	v_add_f64 v[34:35], v[62:63], v[68:69]
	v_add_co_u32_e32 v60, vcc, s10, v56
	v_addc_co_u32_e32 v61, vcc, v58, v57, vcc
	v_lshlrev_b64 v[56:57], 4, v[104:105]
	v_add_f64 v[54:55], v[68:69], -v[62:63]
	v_add_co_u32_e32 v63, vcc, v60, v56
	v_add_u32_e32 v62, 26, v66
	v_addc_co_u32_e32 v61, vcc, v61, v57, vcc
	v_lshlrev_b64 v[56:57], 4, v[64:65]
	v_add_f64 v[32:33], v[70:71], -v[72:73]
	v_mad_u64_u32 v[58:59], s[0:1], s2, v62, 0
	v_add_co_u32_e32 v56, vcc, v63, v56
	v_addc_co_u32_e32 v57, vcc, v61, v57, vcc
	global_store_dwordx4 v[56:57], v[28:31], off
	v_add_u32_e32 v56, 52, v66
	v_mad_u64_u32 v[59:60], s[0:1], s3, v62, v[59:60]
	v_mad_u64_u32 v[30:31], s[0:1], s2, v56, 0
	v_add_f64 v[52:53], v[72:73], v[70:71]
	v_lshlrev_b64 v[28:29], 4, v[58:59]
	v_mad_u64_u32 v[56:57], s[0:1], s3, v56, v[31:32]
	v_add_u32_e32 v59, 0x4e, v66
	v_mad_u64_u32 v[57:58], s[0:1], s2, v59, 0
	v_add_co_u32_e32 v28, vcc, v63, v28
	v_addc_co_u32_e32 v29, vcc, v61, v29, vcc
	v_mov_b32_e32 v31, v56
	global_store_dwordx4 v[28:29], v[52:55], off
	v_lshlrev_b64 v[28:29], 4, v[30:31]
	v_mov_b32_e32 v30, v58
	v_mad_u64_u32 v[30:31], s[0:1], s3, v59, v[30:31]
	v_add_co_u32_e32 v28, vcc, v63, v28
	v_addc_co_u32_e32 v29, vcc, v61, v29, vcc
	global_store_dwordx4 v[28:29], v[48:51], off
	v_mov_b32_e32 v58, v30
	v_add_u32_e32 v48, 0x68, v66
	v_mad_u64_u32 v[30:31], s[0:1], s2, v48, 0
	v_lshlrev_b64 v[28:29], 4, v[57:58]
	v_add_u32_e32 v51, 0x82, v66
	v_mad_u64_u32 v[48:49], s[0:1], s3, v48, v[31:32]
	v_add_co_u32_e32 v28, vcc, v63, v28
	v_addc_co_u32_e32 v29, vcc, v61, v29, vcc
	v_mov_b32_e32 v31, v48
	global_store_dwordx4 v[28:29], v[44:47], off
	v_lshlrev_b64 v[28:29], 4, v[30:31]
	v_mad_u64_u32 v[49:50], s[0:1], s2, v51, 0
	v_add_co_u32_e32 v28, vcc, v63, v28
	v_addc_co_u32_e32 v29, vcc, v61, v29, vcc
	global_store_dwordx4 v[28:29], v[40:43], off
	v_mov_b32_e32 v30, v50
	v_add_u32_e32 v40, 13, v106
	v_mul_hi_u32 v41, v40, s4
	v_mad_u64_u32 v[30:31], s[0:1], s3, v51, v[30:31]
	v_add_u32_e32 v42, 0x9c, v66
	v_lshrrev_b32_e32 v41, 3, v41
	v_mul_lo_u32 v43, v41, 26
	v_mov_b32_e32 v50, v30
	v_mad_u64_u32 v[30:31], s[0:1], s2, v42, 0
	v_sub_u32_e32 v40, v40, v43
	s_movk_i32 s0, 0xb6
	v_mad_u64_u32 v[40:41], s[0:1], v41, s0, v[40:41]
	v_mad_u64_u32 v[41:42], s[0:1], s3, v42, v[31:32]
	v_lshlrev_b64 v[28:29], 4, v[49:50]
	v_mad_u64_u32 v[42:43], s[0:1], s2, v40, 0
	v_add_co_u32_e32 v28, vcc, v63, v28
	v_addc_co_u32_e32 v29, vcc, v61, v29, vcc
	v_mov_b32_e32 v31, v41
	global_store_dwordx4 v[28:29], v[36:39], off
	v_lshlrev_b64 v[28:29], 4, v[30:31]
	v_mov_b32_e32 v30, v43
	v_mad_u64_u32 v[30:31], s[0:1], s3, v40, v[30:31]
	v_add_co_u32_e32 v28, vcc, v63, v28
	v_addc_co_u32_e32 v29, vcc, v61, v29, vcc
	global_store_dwordx4 v[28:29], v[32:35], off
	v_mov_b32_e32 v43, v30
	v_add_u32_e32 v32, 26, v40
	v_mad_u64_u32 v[30:31], s[0:1], s2, v32, 0
	v_add_u32_e32 v34, 52, v40
	v_lshlrev_b64 v[28:29], 4, v[42:43]
	v_mad_u64_u32 v[31:32], s[0:1], s3, v32, v[31:32]
	v_mad_u64_u32 v[32:33], s[0:1], s2, v34, 0
	v_add_co_u32_e32 v28, vcc, v63, v28
	v_addc_co_u32_e32 v29, vcc, v61, v29, vcc
	global_store_dwordx4 v[28:29], v[0:3], off
	s_nop 0
	v_lshlrev_b64 v[0:1], 4, v[30:31]
	v_mov_b32_e32 v2, v33
	v_mad_u64_u32 v[2:3], s[0:1], s3, v34, v[2:3]
	v_add_co_u32_e32 v0, vcc, v63, v0
	v_addc_co_u32_e32 v1, vcc, v61, v1, vcc
	global_store_dwordx4 v[0:1], v[24:27], off
	v_mov_b32_e32 v33, v2
	v_add_u32_e32 v24, 0x4e, v40
	v_mad_u64_u32 v[2:3], s[0:1], s2, v24, 0
	v_add_u32_e32 v27, 0x68, v40
	v_lshlrev_b64 v[0:1], 4, v[32:33]
	v_mad_u64_u32 v[24:25], s[0:1], s3, v24, v[3:4]
	v_mad_u64_u32 v[25:26], s[0:1], s2, v27, 0
	v_add_co_u32_e32 v0, vcc, v63, v0
	v_addc_co_u32_e32 v1, vcc, v61, v1, vcc
	v_mov_b32_e32 v3, v24
	global_store_dwordx4 v[0:1], v[20:23], off
	v_lshlrev_b64 v[0:1], 4, v[2:3]
	v_mov_b32_e32 v2, v26
	v_mad_u64_u32 v[2:3], s[0:1], s3, v27, v[2:3]
	v_add_co_u32_e32 v0, vcc, v63, v0
	v_addc_co_u32_e32 v1, vcc, v61, v1, vcc
	global_store_dwordx4 v[0:1], v[16:19], off
	v_mov_b32_e32 v26, v2
	v_add_u32_e32 v16, 0x82, v40
	v_mad_u64_u32 v[2:3], s[0:1], s2, v16, 0
	v_add_u32_e32 v19, 0x9c, v40
	v_lshlrev_b64 v[0:1], 4, v[25:26]
	v_mad_u64_u32 v[16:17], s[0:1], s3, v16, v[3:4]
	v_mad_u64_u32 v[17:18], s[0:1], s2, v19, 0
	v_add_co_u32_e32 v0, vcc, v63, v0
	v_addc_co_u32_e32 v1, vcc, v61, v1, vcc
	v_mov_b32_e32 v3, v16
	global_store_dwordx4 v[0:1], v[12:15], off
	v_lshlrev_b64 v[0:1], 4, v[2:3]
	v_mov_b32_e32 v2, v18
	v_mad_u64_u32 v[2:3], s[0:1], s3, v19, v[2:3]
	v_add_co_u32_e32 v0, vcc, v63, v0
	v_addc_co_u32_e32 v1, vcc, v61, v1, vcc
	v_mov_b32_e32 v18, v2
	global_store_dwordx4 v[0:1], v[8:11], off
	v_lshlrev_b64 v[0:1], 4, v[17:18]
	v_add_co_u32_e32 v0, vcc, v63, v0
	v_addc_co_u32_e32 v1, vcc, v61, v1, vcc
	global_store_dwordx4 v[0:1], v[4:7], off
.LBB0_19:
	s_endpgm
	.section	.rodata,"a",@progbits
	.p2align	6, 0x0
	.amdhsa_kernel fft_rtc_back_len182_factors_13_2_7_wgs_52_tpt_13_dp_op_CI_CI_sbrr_dirReg
		.amdhsa_group_segment_fixed_size 0
		.amdhsa_private_segment_fixed_size 0
		.amdhsa_kernarg_size 104
		.amdhsa_user_sgpr_count 6
		.amdhsa_user_sgpr_private_segment_buffer 1
		.amdhsa_user_sgpr_dispatch_ptr 0
		.amdhsa_user_sgpr_queue_ptr 0
		.amdhsa_user_sgpr_kernarg_segment_ptr 1
		.amdhsa_user_sgpr_dispatch_id 0
		.amdhsa_user_sgpr_flat_scratch_init 0
		.amdhsa_user_sgpr_private_segment_size 0
		.amdhsa_uses_dynamic_stack 0
		.amdhsa_system_sgpr_private_segment_wavefront_offset 0
		.amdhsa_system_sgpr_workgroup_id_x 1
		.amdhsa_system_sgpr_workgroup_id_y 0
		.amdhsa_system_sgpr_workgroup_id_z 0
		.amdhsa_system_sgpr_workgroup_info 0
		.amdhsa_system_vgpr_workitem_id 0
		.amdhsa_next_free_vgpr 177
		.amdhsa_next_free_sgpr 50
		.amdhsa_reserve_vcc 1
		.amdhsa_reserve_flat_scratch 0
		.amdhsa_float_round_mode_32 0
		.amdhsa_float_round_mode_16_64 0
		.amdhsa_float_denorm_mode_32 3
		.amdhsa_float_denorm_mode_16_64 3
		.amdhsa_dx10_clamp 1
		.amdhsa_ieee_mode 1
		.amdhsa_fp16_overflow 0
		.amdhsa_exception_fp_ieee_invalid_op 0
		.amdhsa_exception_fp_denorm_src 0
		.amdhsa_exception_fp_ieee_div_zero 0
		.amdhsa_exception_fp_ieee_overflow 0
		.amdhsa_exception_fp_ieee_underflow 0
		.amdhsa_exception_fp_ieee_inexact 0
		.amdhsa_exception_int_div_zero 0
	.end_amdhsa_kernel
	.text
.Lfunc_end0:
	.size	fft_rtc_back_len182_factors_13_2_7_wgs_52_tpt_13_dp_op_CI_CI_sbrr_dirReg, .Lfunc_end0-fft_rtc_back_len182_factors_13_2_7_wgs_52_tpt_13_dp_op_CI_CI_sbrr_dirReg
                                        ; -- End function
	.section	.AMDGPU.csdata,"",@progbits
; Kernel info:
; codeLenInByte = 13624
; NumSgprs: 54
; NumVgprs: 177
; ScratchSize: 0
; MemoryBound: 1
; FloatMode: 240
; IeeeMode: 1
; LDSByteSize: 0 bytes/workgroup (compile time only)
; SGPRBlocks: 6
; VGPRBlocks: 44
; NumSGPRsForWavesPerEU: 54
; NumVGPRsForWavesPerEU: 177
; Occupancy: 1
; WaveLimiterHint : 1
; COMPUTE_PGM_RSRC2:SCRATCH_EN: 0
; COMPUTE_PGM_RSRC2:USER_SGPR: 6
; COMPUTE_PGM_RSRC2:TRAP_HANDLER: 0
; COMPUTE_PGM_RSRC2:TGID_X_EN: 1
; COMPUTE_PGM_RSRC2:TGID_Y_EN: 0
; COMPUTE_PGM_RSRC2:TGID_Z_EN: 0
; COMPUTE_PGM_RSRC2:TIDIG_COMP_CNT: 0
	.type	__hip_cuid_e98090bddff98749,@object ; @__hip_cuid_e98090bddff98749
	.section	.bss,"aw",@nobits
	.globl	__hip_cuid_e98090bddff98749
__hip_cuid_e98090bddff98749:
	.byte	0                               ; 0x0
	.size	__hip_cuid_e98090bddff98749, 1

	.ident	"AMD clang version 19.0.0git (https://github.com/RadeonOpenCompute/llvm-project roc-6.4.0 25133 c7fe45cf4b819c5991fe208aaa96edf142730f1d)"
	.section	".note.GNU-stack","",@progbits
	.addrsig
	.addrsig_sym __hip_cuid_e98090bddff98749
	.amdgpu_metadata
---
amdhsa.kernels:
  - .args:
      - .actual_access:  read_only
        .address_space:  global
        .offset:         0
        .size:           8
        .value_kind:     global_buffer
      - .offset:         8
        .size:           8
        .value_kind:     by_value
      - .actual_access:  read_only
        .address_space:  global
        .offset:         16
        .size:           8
        .value_kind:     global_buffer
      - .actual_access:  read_only
        .address_space:  global
        .offset:         24
        .size:           8
        .value_kind:     global_buffer
      - .actual_access:  read_only
        .address_space:  global
        .offset:         32
        .size:           8
        .value_kind:     global_buffer
      - .offset:         40
        .size:           8
        .value_kind:     by_value
      - .actual_access:  read_only
        .address_space:  global
        .offset:         48
        .size:           8
        .value_kind:     global_buffer
      - .actual_access:  read_only
        .address_space:  global
        .offset:         56
        .size:           8
        .value_kind:     global_buffer
      - .offset:         64
        .size:           4
        .value_kind:     by_value
      - .actual_access:  read_only
        .address_space:  global
        .offset:         72
        .size:           8
        .value_kind:     global_buffer
      - .actual_access:  read_only
        .address_space:  global
        .offset:         80
        .size:           8
        .value_kind:     global_buffer
      - .actual_access:  read_only
        .address_space:  global
        .offset:         88
        .size:           8
        .value_kind:     global_buffer
      - .actual_access:  write_only
        .address_space:  global
        .offset:         96
        .size:           8
        .value_kind:     global_buffer
    .group_segment_fixed_size: 0
    .kernarg_segment_align: 8
    .kernarg_segment_size: 104
    .language:       OpenCL C
    .language_version:
      - 2
      - 0
    .max_flat_workgroup_size: 52
    .name:           fft_rtc_back_len182_factors_13_2_7_wgs_52_tpt_13_dp_op_CI_CI_sbrr_dirReg
    .private_segment_fixed_size: 0
    .sgpr_count:     54
    .sgpr_spill_count: 0
    .symbol:         fft_rtc_back_len182_factors_13_2_7_wgs_52_tpt_13_dp_op_CI_CI_sbrr_dirReg.kd
    .uniform_work_group_size: 1
    .uses_dynamic_stack: false
    .vgpr_count:     177
    .vgpr_spill_count: 0
    .wavefront_size: 64
amdhsa.target:   amdgcn-amd-amdhsa--gfx906
amdhsa.version:
  - 1
  - 2
...

	.end_amdgpu_metadata
